;; amdgpu-corpus repo=ROCm/rocFFT kind=compiled arch=gfx950 opt=O3
	.text
	.amdgcn_target "amdgcn-amd-amdhsa--gfx950"
	.amdhsa_code_object_version 6
	.protected	fft_rtc_back_len1512_factors_2_2_2_3_3_3_7_wgs_63_tpt_63_halfLds_dp_op_CI_CI_unitstride_sbrr_C2R_dirReg ; -- Begin function fft_rtc_back_len1512_factors_2_2_2_3_3_3_7_wgs_63_tpt_63_halfLds_dp_op_CI_CI_unitstride_sbrr_C2R_dirReg
	.globl	fft_rtc_back_len1512_factors_2_2_2_3_3_3_7_wgs_63_tpt_63_halfLds_dp_op_CI_CI_unitstride_sbrr_C2R_dirReg
	.p2align	8
	.type	fft_rtc_back_len1512_factors_2_2_2_3_3_3_7_wgs_63_tpt_63_halfLds_dp_op_CI_CI_unitstride_sbrr_C2R_dirReg,@function
fft_rtc_back_len1512_factors_2_2_2_3_3_3_7_wgs_63_tpt_63_halfLds_dp_op_CI_CI_unitstride_sbrr_C2R_dirReg: ; @fft_rtc_back_len1512_factors_2_2_2_3_3_3_7_wgs_63_tpt_63_halfLds_dp_op_CI_CI_unitstride_sbrr_C2R_dirReg
; %bb.0:
	s_load_dwordx4 s[4:7], s[0:1], 0x58
	s_load_dwordx4 s[8:11], s[0:1], 0x0
	;; [unrolled: 1-line block ×3, first 2 shown]
	v_mul_u32_u24_e32 v1, 0x411, v0
	v_add_u32_sdwa v6, s2, v1 dst_sel:DWORD dst_unused:UNUSED_PAD src0_sel:DWORD src1_sel:WORD_1
	v_mov_b32_e32 v4, 0
	s_waitcnt lgkmcnt(0)
	v_cmp_lt_u64_e64 s[2:3], s[10:11], 2
	v_mov_b32_e32 v7, v4
	s_and_b64 vcc, exec, s[2:3]
	v_mov_b64_e32 v[2:3], 0
	s_cbranch_vccnz .LBB0_8
; %bb.1:
	s_load_dwordx2 s[2:3], s[0:1], 0x10
	s_add_u32 s16, s14, 8
	s_addc_u32 s17, s15, 0
	s_add_u32 s18, s12, 8
	s_addc_u32 s19, s13, 0
	s_waitcnt lgkmcnt(0)
	s_add_u32 s20, s2, 8
	v_mov_b64_e32 v[2:3], 0
	s_addc_u32 s21, s3, 0
	s_mov_b64 s[22:23], 1
	v_mov_b64_e32 v[112:113], v[2:3]
.LBB0_2:                                ; =>This Inner Loop Header: Depth=1
	s_load_dwordx2 s[24:25], s[20:21], 0x0
                                        ; implicit-def: $vgpr116_vgpr117
	s_waitcnt lgkmcnt(0)
	v_or_b32_e32 v5, s25, v7
	v_cmp_ne_u64_e32 vcc, 0, v[4:5]
	s_and_saveexec_b64 s[2:3], vcc
	s_xor_b64 s[26:27], exec, s[2:3]
	s_cbranch_execz .LBB0_4
; %bb.3:                                ;   in Loop: Header=BB0_2 Depth=1
	v_cvt_f32_u32_e32 v1, s24
	v_cvt_f32_u32_e32 v5, s25
	s_sub_u32 s2, 0, s24
	s_subb_u32 s3, 0, s25
	v_fmac_f32_e32 v1, 0x4f800000, v5
	v_rcp_f32_e32 v1, v1
	s_nop 0
	v_mul_f32_e32 v1, 0x5f7ffffc, v1
	v_mul_f32_e32 v5, 0x2f800000, v1
	v_trunc_f32_e32 v5, v5
	v_fmac_f32_e32 v1, 0xcf800000, v5
	v_cvt_u32_f32_e32 v5, v5
	v_cvt_u32_f32_e32 v1, v1
	v_mul_lo_u32 v8, s2, v5
	v_mul_hi_u32 v10, s2, v1
	v_mul_lo_u32 v9, s3, v1
	v_add_u32_e32 v10, v10, v8
	v_mul_lo_u32 v12, s2, v1
	v_add_u32_e32 v13, v10, v9
	v_mul_hi_u32 v8, v1, v12
	v_mul_hi_u32 v11, v1, v13
	v_mul_lo_u32 v10, v1, v13
	v_mov_b32_e32 v9, v4
	v_lshl_add_u64 v[8:9], v[8:9], 0, v[10:11]
	v_mul_hi_u32 v11, v5, v12
	v_mul_lo_u32 v12, v5, v12
	v_add_co_u32_e32 v8, vcc, v8, v12
	v_mul_hi_u32 v10, v5, v13
	s_nop 0
	v_addc_co_u32_e32 v8, vcc, v9, v11, vcc
	v_mov_b32_e32 v9, v4
	s_nop 0
	v_addc_co_u32_e32 v11, vcc, 0, v10, vcc
	v_mul_lo_u32 v10, v5, v13
	v_lshl_add_u64 v[8:9], v[8:9], 0, v[10:11]
	v_add_co_u32_e32 v1, vcc, v1, v8
	v_mul_lo_u32 v10, s2, v1
	s_nop 0
	v_addc_co_u32_e32 v5, vcc, v5, v9, vcc
	v_mul_lo_u32 v8, s2, v5
	v_mul_hi_u32 v9, s2, v1
	v_add_u32_e32 v8, v9, v8
	v_mul_lo_u32 v9, s3, v1
	v_add_u32_e32 v12, v8, v9
	v_mul_hi_u32 v14, v5, v10
	v_mul_lo_u32 v15, v5, v10
	v_mul_hi_u32 v9, v1, v12
	v_mul_lo_u32 v8, v1, v12
	v_mul_hi_u32 v10, v1, v10
	v_mov_b32_e32 v11, v4
	v_lshl_add_u64 v[8:9], v[10:11], 0, v[8:9]
	v_add_co_u32_e32 v8, vcc, v8, v15
	v_mul_hi_u32 v13, v5, v12
	s_nop 0
	v_addc_co_u32_e32 v8, vcc, v9, v14, vcc
	v_mul_lo_u32 v10, v5, v12
	s_nop 0
	v_addc_co_u32_e32 v11, vcc, 0, v13, vcc
	v_mov_b32_e32 v9, v4
	v_lshl_add_u64 v[8:9], v[8:9], 0, v[10:11]
	v_add_co_u32_e32 v1, vcc, v1, v8
	v_mul_hi_u32 v10, v6, v1
	s_nop 0
	v_addc_co_u32_e32 v5, vcc, v5, v9, vcc
	v_mad_u64_u32 v[8:9], s[2:3], v6, v5, 0
	v_mov_b32_e32 v11, v4
	v_lshl_add_u64 v[8:9], v[10:11], 0, v[8:9]
	v_mad_u64_u32 v[12:13], s[2:3], v7, v1, 0
	v_add_co_u32_e32 v1, vcc, v8, v12
	v_mad_u64_u32 v[10:11], s[2:3], v7, v5, 0
	s_nop 0
	v_addc_co_u32_e32 v8, vcc, v9, v13, vcc
	v_mov_b32_e32 v9, v4
	s_nop 0
	v_addc_co_u32_e32 v11, vcc, 0, v11, vcc
	v_lshl_add_u64 v[8:9], v[8:9], 0, v[10:11]
	v_mul_lo_u32 v1, s25, v8
	v_mul_lo_u32 v5, s24, v9
	v_mad_u64_u32 v[10:11], s[2:3], s24, v8, 0
	v_add3_u32 v1, v11, v5, v1
	v_sub_u32_e32 v5, v7, v1
	v_mov_b32_e32 v11, s25
	v_sub_co_u32_e32 v14, vcc, v6, v10
	v_lshl_add_u64 v[12:13], v[8:9], 0, 1
	s_nop 0
	v_subb_co_u32_e64 v5, s[2:3], v5, v11, vcc
	v_subrev_co_u32_e64 v10, s[2:3], s24, v14
	v_subb_co_u32_e32 v1, vcc, v7, v1, vcc
	s_nop 0
	v_subbrev_co_u32_e64 v5, s[2:3], 0, v5, s[2:3]
	v_cmp_le_u32_e64 s[2:3], s25, v5
	v_cmp_le_u32_e32 vcc, s25, v1
	s_nop 0
	v_cndmask_b32_e64 v11, 0, -1, s[2:3]
	v_cmp_le_u32_e64 s[2:3], s24, v10
	s_nop 1
	v_cndmask_b32_e64 v10, 0, -1, s[2:3]
	v_cmp_eq_u32_e64 s[2:3], s25, v5
	s_nop 1
	v_cndmask_b32_e64 v5, v11, v10, s[2:3]
	v_lshl_add_u64 v[10:11], v[8:9], 0, 2
	v_cmp_ne_u32_e64 s[2:3], 0, v5
	s_nop 1
	v_cndmask_b32_e64 v5, v13, v11, s[2:3]
	v_cndmask_b32_e64 v11, 0, -1, vcc
	v_cmp_le_u32_e32 vcc, s24, v14
	s_nop 1
	v_cndmask_b32_e64 v13, 0, -1, vcc
	v_cmp_eq_u32_e32 vcc, s25, v1
	s_nop 1
	v_cndmask_b32_e32 v1, v11, v13, vcc
	v_cmp_ne_u32_e32 vcc, 0, v1
	v_cndmask_b32_e64 v1, v12, v10, s[2:3]
	s_nop 0
	v_cndmask_b32_e32 v117, v9, v5, vcc
	v_cndmask_b32_e32 v116, v8, v1, vcc
.LBB0_4:                                ;   in Loop: Header=BB0_2 Depth=1
	s_andn2_saveexec_b64 s[2:3], s[26:27]
	s_cbranch_execz .LBB0_6
; %bb.5:                                ;   in Loop: Header=BB0_2 Depth=1
	v_cvt_f32_u32_e32 v1, s24
	s_sub_i32 s26, 0, s24
	v_mov_b32_e32 v117, v4
	v_rcp_iflag_f32_e32 v1, v1
	s_nop 0
	v_mul_f32_e32 v1, 0x4f7ffffe, v1
	v_cvt_u32_f32_e32 v1, v1
	v_mul_lo_u32 v5, s26, v1
	v_mul_hi_u32 v5, v1, v5
	v_add_u32_e32 v1, v1, v5
	v_mul_hi_u32 v1, v6, v1
	v_mul_lo_u32 v5, v1, s24
	v_sub_u32_e32 v5, v6, v5
	v_add_u32_e32 v8, 1, v1
	v_subrev_u32_e32 v9, s24, v5
	v_cmp_le_u32_e32 vcc, s24, v5
	s_nop 1
	v_cndmask_b32_e32 v5, v5, v9, vcc
	v_cndmask_b32_e32 v1, v1, v8, vcc
	v_add_u32_e32 v8, 1, v1
	v_cmp_le_u32_e32 vcc, s24, v5
	s_nop 1
	v_cndmask_b32_e32 v116, v1, v8, vcc
.LBB0_6:                                ;   in Loop: Header=BB0_2 Depth=1
	s_or_b64 exec, exec, s[2:3]
	v_mad_u64_u32 v[8:9], s[2:3], v116, s24, 0
	s_load_dwordx2 s[2:3], s[18:19], 0x0
	v_mul_lo_u32 v1, v117, s24
	v_mul_lo_u32 v5, v116, s25
	s_load_dwordx2 s[24:25], s[16:17], 0x0
	s_add_u32 s22, s22, 1
	v_add3_u32 v1, v9, v5, v1
	v_sub_co_u32_e32 v5, vcc, v6, v8
	s_addc_u32 s23, s23, 0
	s_nop 0
	v_subb_co_u32_e32 v1, vcc, v7, v1, vcc
	s_add_u32 s16, s16, 8
	s_waitcnt lgkmcnt(0)
	v_mul_lo_u32 v6, s2, v1
	v_mul_lo_u32 v7, s3, v5
	v_mad_u64_u32 v[2:3], s[2:3], s2, v5, v[2:3]
	s_addc_u32 s17, s17, 0
	v_add3_u32 v3, v7, v3, v6
	v_mul_lo_u32 v1, s24, v1
	v_mul_lo_u32 v6, s25, v5
	v_mad_u64_u32 v[112:113], s[2:3], s24, v5, v[112:113]
	s_add_u32 s18, s18, 8
	v_add3_u32 v113, v6, v113, v1
	s_addc_u32 s19, s19, 0
	v_mov_b64_e32 v[6:7], s[10:11]
	s_add_u32 s20, s20, 8
	v_cmp_ge_u64_e32 vcc, s[22:23], v[6:7]
	s_addc_u32 s21, s21, 0
	s_cbranch_vccnz .LBB0_9
; %bb.7:                                ;   in Loop: Header=BB0_2 Depth=1
	v_mov_b64_e32 v[6:7], v[116:117]
	s_branch .LBB0_2
.LBB0_8:
	v_mov_b64_e32 v[112:113], v[2:3]
	v_mov_b64_e32 v[116:117], v[6:7]
.LBB0_9:
	s_load_dwordx2 s[18:19], s[0:1], 0x28
	s_lshl_b64 s[16:17], s[10:11], 3
	s_add_u32 s2, s14, s16
	s_addc_u32 s3, s15, s17
                                        ; implicit-def: $vgpr114
	s_waitcnt lgkmcnt(0)
	v_cmp_gt_u64_e64 s[0:1], s[18:19], v[116:117]
	v_cmp_le_u64_e32 vcc, s[18:19], v[116:117]
	s_and_saveexec_b64 s[10:11], vcc
	s_xor_b64 s[10:11], exec, s[10:11]
; %bb.10:
	s_mov_b32 s14, 0x4104105
	v_mul_hi_u32 v1, v0, s14
	v_mul_u32_u24_e32 v1, 63, v1
	v_sub_u32_e32 v114, v0, v1
                                        ; implicit-def: $vgpr0
                                        ; implicit-def: $vgpr2_vgpr3
; %bb.11:
	s_or_saveexec_b64 s[10:11], s[10:11]
	s_load_dwordx2 s[2:3], s[2:3], 0x0
	s_xor_b64 exec, exec, s[10:11]
	s_cbranch_execz .LBB0_15
; %bb.12:
	s_add_u32 s12, s12, s16
	s_addc_u32 s13, s13, s17
	s_load_dwordx2 s[12:13], s[12:13], 0x0
	s_mov_b32 s14, 0x4104105
	s_waitcnt lgkmcnt(0)
	v_mul_lo_u32 v1, s13, v116
	v_mul_lo_u32 v6, s12, v117
	v_mad_u64_u32 v[4:5], s[12:13], s12, v116, 0
	v_add3_u32 v5, v5, v6, v1
	v_mul_hi_u32 v1, v0, s14
	v_mul_u32_u24_e32 v1, 63, v1
	v_sub_u32_e32 v114, v0, v1
	v_lshl_add_u64 v[0:1], v[4:5], 4, s[4:5]
	v_lshl_add_u64 v[2:3], v[2:3], 4, v[0:1]
	v_lshlrev_b32_e32 v0, 4, v114
	v_mov_b32_e32 v1, 0
	v_lshl_add_u64 v[84:85], v[2:3], 0, v[0:1]
	s_movk_i32 s4, 0x1000
	v_add_co_u32_e32 v52, vcc, s4, v84
	s_movk_i32 s4, 0x2000
	s_nop 0
	v_addc_co_u32_e32 v53, vcc, 0, v85, vcc
	v_add_co_u32_e32 v68, vcc, s4, v84
	s_movk_i32 s4, 0x3000
	s_nop 0
	v_addc_co_u32_e32 v69, vcc, 0, v85, vcc
	;; [unrolled: 4-line block ×3, first 2 shown]
	v_add_co_u32_e32 v100, vcc, s5, v84
	global_load_dwordx4 v[4:7], v[84:85], off
	global_load_dwordx4 v[8:11], v[84:85], off offset:1008
	global_load_dwordx4 v[12:15], v[84:85], off offset:2016
	;; [unrolled: 1-line block ×3, first 2 shown]
	v_addc_co_u32_e32 v101, vcc, 0, v85, vcc
	v_add_co_u32_e32 v102, vcc, 0x5000, v84
	global_load_dwordx4 v[20:23], v[84:85], off offset:4032
	global_load_dwordx4 v[24:27], v[52:53], off offset:944
	;; [unrolled: 1-line block ×8, first 2 shown]
	s_nop 0
	global_load_dwordx4 v[52:55], v[68:69], off offset:3904
	global_load_dwordx4 v[56:59], v[86:87], off offset:816
	;; [unrolled: 1-line block ×4, first 2 shown]
	s_nop 0
	global_load_dwordx4 v[68:71], v[86:87], off offset:3840
	global_load_dwordx4 v[72:75], v[100:101], off offset:752
	;; [unrolled: 1-line block ×4, first 2 shown]
	v_addc_co_u32_e32 v103, vcc, 0, v85, vcc
	global_load_dwordx4 v[84:87], v[100:101], off offset:3776
	global_load_dwordx4 v[88:91], v[102:103], off offset:688
	;; [unrolled: 1-line block ×4, first 2 shown]
	v_add_u32_e32 v0, 0, v0
	v_cmp_eq_u32_e32 vcc, 62, v114
	s_waitcnt vmcnt(23)
	ds_write_b128 v0, v[4:7]
	s_waitcnt vmcnt(22)
	ds_write_b128 v0, v[8:11] offset:1008
	s_waitcnt vmcnt(21)
	ds_write_b128 v0, v[12:15] offset:2016
	;; [unrolled: 2-line block ×23, first 2 shown]
	s_and_saveexec_b64 s[4:5], vcc
	s_cbranch_execz .LBB0_14
; %bb.13:
	v_add_co_u32_e32 v2, vcc, 0x5000, v2
	v_mov_b32_e32 v114, 62
	s_nop 0
	v_addc_co_u32_e32 v3, vcc, 0, v3, vcc
	global_load_dwordx4 v[2:5], v[2:3], off offset:3712
	s_waitcnt vmcnt(0)
	ds_write_b128 v1, v[2:5] offset:24192
.LBB0_14:
	s_or_b64 exec, exec, s[4:5]
.LBB0_15:
	s_or_b64 exec, exec, s[10:11]
	v_lshlrev_b32_e32 v0, 4, v114
	v_add_u32_e32 v144, 0, v0
	s_waitcnt lgkmcnt(0)
	; wave barrier
	s_waitcnt lgkmcnt(0)
	v_sub_u32_e32 v22, 0, v0
	ds_read_b64 v[2:3], v144
	ds_read_b64 v[4:5], v22 offset:24192
	s_add_u32 s4, s8, 0x5e60
	s_addc_u32 s5, s9, 0
	v_cmp_ne_u32_e32 vcc, 0, v114
                                        ; implicit-def: $vgpr0_vgpr1
	s_waitcnt lgkmcnt(0)
	v_add_f64 v[16:17], v[2:3], v[4:5]
	v_add_f64 v[18:19], v[2:3], -v[4:5]
	s_and_saveexec_b64 s[10:11], vcc
	s_xor_b64 s[10:11], exec, s[10:11]
	s_cbranch_execz .LBB0_17
; %bb.16:
	v_mov_b32_e32 v115, 0
	v_lshl_add_u64 v[0:1], v[114:115], 4, s[4:5]
	global_load_dwordx4 v[6:9], v[0:1], off
	ds_read_b64 v[0:1], v22 offset:24200
	ds_read_b64 v[10:11], v144 offset:8
	v_add_f64 v[12:13], v[2:3], v[4:5]
	v_add_f64 v[4:5], v[2:3], -v[4:5]
	s_waitcnt lgkmcnt(0)
	v_add_f64 v[14:15], v[0:1], v[10:11]
	v_add_f64 v[2:3], v[10:11], -v[0:1]
	s_waitcnt vmcnt(0)
	v_fma_f64 v[18:19], v[14:15], v[8:9], v[2:3]
	v_fma_f64 v[0:1], -v[4:5], v[8:9], v[12:13]
	v_fma_f64 v[2:3], v[14:15], v[8:9], -v[2:3]
	v_fma_f64 v[10:11], v[4:5], v[8:9], v[12:13]
	v_fmac_f64_e32 v[0:1], v[14:15], v[6:7]
	v_fmac_f64_e32 v[2:3], v[4:5], v[6:7]
	v_fma_f64 v[16:17], -v[14:15], v[6:7], v[10:11]
	v_fmac_f64_e32 v[18:19], v[4:5], v[6:7]
	ds_write_b128 v22, v[0:3] offset:24192
	v_mov_b64_e32 v[0:1], v[114:115]
.LBB0_17:
	s_andn2_saveexec_b64 s[10:11], s[10:11]
	s_cbranch_execz .LBB0_19
; %bb.18:
	v_mov_b32_e32 v4, 0
	ds_read_b128 v[0:3], v4 offset:12096
	s_waitcnt lgkmcnt(0)
	v_add_f64 v[0:1], v[0:1], v[0:1]
	v_mul_f64 v[2:3], v[2:3], -2.0
	ds_write_b128 v4, v[0:3] offset:12096
	v_mov_b64_e32 v[0:1], 0
.LBB0_19:
	s_or_b64 exec, exec, s[10:11]
	v_lshl_add_u64 v[20:21], v[0:1], 4, s[4:5]
	global_load_dwordx4 v[0:3], v[20:21], off offset:1008
	global_load_dwordx4 v[4:7], v[20:21], off offset:2016
	;; [unrolled: 1-line block ×3, first 2 shown]
	v_add_u32_e32 v118, 0xfc, v114
	v_mov_b32_e32 v119, 0
	v_lshl_add_u64 v[12:13], v[118:119], 4, s[4:5]
	global_load_dwordx4 v[12:15], v[12:13], off
	v_add_u32_e32 v72, 0x13b, v114
	v_mov_b32_e32 v73, v119
	ds_write_b128 v144, v[16:19]
	v_lshl_add_u64 v[28:29], v[72:73], 4, s[4:5]
	ds_read_b128 v[16:19], v144 offset:1008
	ds_read_b128 v[24:27], v22 offset:23184
	global_load_dwordx4 v[28:31], v[28:29], off
	v_add_u32_e32 v76, 0x17a, v114
	v_mov_b32_e32 v77, v119
	v_add_u32_e32 v74, 0x1b9, v114
	s_waitcnt lgkmcnt(0)
	v_add_f64 v[32:33], v[16:17], v[24:25]
	v_add_f64 v[34:35], v[26:27], v[18:19]
	v_add_f64 v[36:37], v[16:17], -v[24:25]
	v_add_f64 v[16:17], v[18:19], -v[26:27]
	v_mov_b32_e32 v75, v119
	s_movk_i32 s10, 0x1000
	v_lshl_add_u32 v96, v118, 4, 0
	s_movk_i32 s11, 0x2000
	v_lshl_add_u32 v97, v72, 4, 0
	v_lshl_add_u32 v98, v76, 4, 0
	;; [unrolled: 1-line block ×4, first 2 shown]
	v_add_u32_e32 v115, 0xbd, v114
	v_and_b32_e32 v120, 1, v74
	v_and_b32_e32 v122, 1, v114
	;; [unrolled: 1-line block ×5, first 2 shown]
	s_movk_i32 s12, 0xab
	s_movk_i32 s13, 0x480
	s_waitcnt vmcnt(4)
	v_fma_f64 v[38:39], v[36:37], v[2:3], v[32:33]
	v_fma_f64 v[18:19], v[34:35], v[2:3], v[16:17]
	v_fma_f64 v[24:25], -v[36:37], v[2:3], v[32:33]
	v_fma_f64 v[26:27], v[34:35], v[2:3], -v[16:17]
	v_fma_f64 v[16:17], -v[34:35], v[0:1], v[38:39]
	v_fmac_f64_e32 v[18:19], v[36:37], v[0:1]
	v_fmac_f64_e32 v[24:25], v[34:35], v[0:1]
	;; [unrolled: 1-line block ×3, first 2 shown]
	ds_write_b128 v144, v[16:19] offset:1008
	ds_write_b128 v22, v[24:27] offset:23184
	v_lshl_add_u64 v[24:25], v[76:77], 4, s[4:5]
	ds_read_b128 v[0:3], v144 offset:2016
	ds_read_b128 v[16:19], v22 offset:22176
	global_load_dwordx4 v[24:27], v[24:25], off
	v_and_b32_e32 v77, 1, v72
	s_waitcnt lgkmcnt(0)
	v_add_f64 v[32:33], v[0:1], v[16:17]
	v_add_f64 v[34:35], v[18:19], v[2:3]
	v_add_f64 v[36:37], v[0:1], -v[16:17]
	v_add_f64 v[0:1], v[2:3], -v[18:19]
	s_waitcnt vmcnt(4)
	v_fma_f64 v[38:39], v[36:37], v[6:7], v[32:33]
	v_fma_f64 v[2:3], v[34:35], v[6:7], v[0:1]
	v_fma_f64 v[16:17], -v[36:37], v[6:7], v[32:33]
	v_fma_f64 v[18:19], v[34:35], v[6:7], -v[0:1]
	v_fma_f64 v[0:1], -v[34:35], v[4:5], v[38:39]
	v_fmac_f64_e32 v[2:3], v[36:37], v[4:5]
	v_fmac_f64_e32 v[16:17], v[34:35], v[4:5]
	v_fmac_f64_e32 v[18:19], v[36:37], v[4:5]
	ds_write_b128 v144, v[0:3] offset:2016
	ds_write_b128 v22, v[16:19] offset:22176
	v_lshl_add_u64 v[16:17], v[74:75], 4, s[4:5]
	ds_read_b128 v[0:3], v144 offset:3024
	ds_read_b128 v[4:7], v22 offset:21168
	global_load_dwordx4 v[16:19], v[16:17], off
	v_add_u32_e32 v75, 63, v114
	v_and_b32_e32 v124, 1, v75
	s_movk_i32 s4, 0x7c
	s_waitcnt lgkmcnt(0)
	v_add_f64 v[32:33], v[0:1], v[4:5]
	v_add_f64 v[34:35], v[6:7], v[2:3]
	v_add_f64 v[36:37], v[0:1], -v[4:5]
	v_add_f64 v[0:1], v[2:3], -v[6:7]
	s_waitcnt vmcnt(4)
	v_fma_f64 v[38:39], v[36:37], v[10:11], v[32:33]
	v_fma_f64 v[2:3], v[34:35], v[10:11], v[0:1]
	v_fma_f64 v[4:5], -v[36:37], v[10:11], v[32:33]
	v_fma_f64 v[6:7], v[34:35], v[10:11], -v[0:1]
	v_fma_f64 v[0:1], -v[34:35], v[8:9], v[38:39]
	v_fmac_f64_e32 v[2:3], v[36:37], v[8:9]
	v_fmac_f64_e32 v[4:5], v[34:35], v[8:9]
	;; [unrolled: 1-line block ×3, first 2 shown]
	v_add_co_u32_e32 v8, vcc, s10, v20
	ds_write_b128 v144, v[0:3] offset:3024
	ds_write_b128 v22, v[4:7] offset:21168
	v_addc_co_u32_e32 v9, vcc, 0, v21, vcc
	ds_read_b128 v[0:3], v96
	ds_read_b128 v[4:7], v22 offset:20160
	global_load_dwordx4 v[8:11], v[8:9], off offset:3968
	v_add_co_u32_e32 v20, vcc, s11, v20
	s_movk_i32 s5, 0x2fc
	s_waitcnt lgkmcnt(0)
	v_add_f64 v[32:33], v[0:1], v[4:5]
	v_add_f64 v[34:35], v[6:7], v[2:3]
	v_add_f64 v[36:37], v[0:1], -v[4:5]
	v_add_f64 v[0:1], v[2:3], -v[6:7]
	s_waitcnt vmcnt(4)
	v_fma_f64 v[38:39], v[36:37], v[14:15], v[32:33]
	v_fma_f64 v[2:3], v[34:35], v[14:15], v[0:1]
	v_fma_f64 v[4:5], -v[36:37], v[14:15], v[32:33]
	v_fma_f64 v[6:7], v[34:35], v[14:15], -v[0:1]
	v_fma_f64 v[0:1], -v[34:35], v[12:13], v[38:39]
	v_fmac_f64_e32 v[2:3], v[36:37], v[12:13]
	v_fmac_f64_e32 v[4:5], v[34:35], v[12:13]
	v_fmac_f64_e32 v[6:7], v[36:37], v[12:13]
	ds_write_b128 v96, v[0:3]
	ds_write_b128 v22, v[4:7] offset:20160
	ds_read_b128 v[0:3], v97
	ds_read_b128 v[4:7], v22 offset:19152
	v_addc_co_u32_e32 v21, vcc, 0, v21, vcc
	global_load_dwordx4 v[12:15], v[20:21], off offset:880
	v_and_b32_e32 v131, 3, v75
	s_waitcnt lgkmcnt(0)
	v_add_f64 v[32:33], v[0:1], v[4:5]
	v_add_f64 v[34:35], v[6:7], v[2:3]
	v_add_f64 v[36:37], v[0:1], -v[4:5]
	v_add_f64 v[0:1], v[2:3], -v[6:7]
	s_waitcnt vmcnt(4)
	v_fma_f64 v[38:39], v[36:37], v[30:31], v[32:33]
	v_fma_f64 v[2:3], v[34:35], v[30:31], v[0:1]
	v_fma_f64 v[4:5], -v[36:37], v[30:31], v[32:33]
	v_fma_f64 v[6:7], v[34:35], v[30:31], -v[0:1]
	v_fma_f64 v[0:1], -v[34:35], v[28:29], v[38:39]
	v_fmac_f64_e32 v[2:3], v[36:37], v[28:29]
	v_fmac_f64_e32 v[4:5], v[34:35], v[28:29]
	;; [unrolled: 1-line block ×3, first 2 shown]
	ds_write_b128 v97, v[0:3]
	ds_write_b128 v22, v[4:7] offset:19152
	ds_read_b128 v[0:3], v98
	ds_read_b128 v[4:7], v22 offset:18144
	global_load_dwordx4 v[28:31], v[20:21], off offset:1888
	s_mov_b32 s11, 0x3febb67a
	v_cmp_gt_u32_e32 vcc, 9, v114
	s_waitcnt lgkmcnt(0)
	v_add_f64 v[32:33], v[0:1], v[4:5]
	v_add_f64 v[34:35], v[6:7], v[2:3]
	v_add_f64 v[36:37], v[0:1], -v[4:5]
	v_add_f64 v[6:7], v[2:3], -v[6:7]
	s_waitcnt vmcnt(4)
	v_fma_f64 v[0:1], v[36:37], v[26:27], v[32:33]
	v_fma_f64 v[2:3], v[34:35], v[26:27], v[6:7]
	v_fma_f64 v[4:5], -v[36:37], v[26:27], v[32:33]
	v_fma_f64 v[6:7], v[34:35], v[26:27], -v[6:7]
	v_fma_f64 v[0:1], -v[34:35], v[24:25], v[0:1]
	v_fmac_f64_e32 v[2:3], v[36:37], v[24:25]
	v_fmac_f64_e32 v[4:5], v[34:35], v[24:25]
	;; [unrolled: 1-line block ×3, first 2 shown]
	ds_write_b128 v98, v[0:3]
	ds_write_b128 v22, v[4:7] offset:18144
	ds_read_b128 v[0:3], v99
	ds_read_b128 v[4:7], v22 offset:17136
	s_waitcnt lgkmcnt(0)
	v_add_f64 v[24:25], v[0:1], v[4:5]
	v_add_f64 v[26:27], v[6:7], v[2:3]
	v_add_f64 v[32:33], v[0:1], -v[4:5]
	v_add_f64 v[34:35], v[2:3], -v[6:7]
	global_load_dwordx4 v[0:3], v[20:21], off offset:2896
	s_waitcnt vmcnt(4)
	v_fma_f64 v[4:5], v[32:33], v[18:19], v[24:25]
	v_fma_f64 v[6:7], v[26:27], v[18:19], v[34:35]
	v_fma_f64 v[4:5], -v[26:27], v[16:17], v[4:5]
	v_fmac_f64_e32 v[6:7], v[32:33], v[16:17]
	ds_write_b128 v99, v[4:7]
	v_fma_f64 v[4:5], -v[32:33], v[18:19], v[24:25]
	v_fma_f64 v[6:7], v[26:27], v[18:19], -v[34:35]
	v_fmac_f64_e32 v[4:5], v[26:27], v[16:17]
	v_fmac_f64_e32 v[6:7], v[32:33], v[16:17]
	ds_write_b128 v22, v[4:7] offset:17136
	ds_read_b128 v[4:7], v144 offset:8064
	ds_read_b128 v[16:19], v22 offset:16128
	s_waitcnt lgkmcnt(0)
	v_add_f64 v[20:21], v[4:5], v[16:17]
	v_add_f64 v[24:25], v[18:19], v[6:7]
	v_add_f64 v[16:17], v[4:5], -v[16:17]
	v_add_f64 v[18:19], v[6:7], -v[18:19]
	s_waitcnt vmcnt(3)
	v_fma_f64 v[4:5], v[16:17], v[10:11], v[20:21]
	v_fma_f64 v[6:7], v[24:25], v[10:11], v[18:19]
	v_fma_f64 v[4:5], -v[24:25], v[8:9], v[4:5]
	v_fmac_f64_e32 v[6:7], v[16:17], v[8:9]
	ds_write_b128 v144, v[4:7] offset:8064
	v_fma_f64 v[4:5], -v[16:17], v[10:11], v[20:21]
	v_fma_f64 v[6:7], v[24:25], v[10:11], -v[18:19]
	v_fmac_f64_e32 v[4:5], v[24:25], v[8:9]
	v_fmac_f64_e32 v[6:7], v[16:17], v[8:9]
	ds_write_b128 v22, v[4:7] offset:16128
	ds_read_b128 v[4:7], v144 offset:9072
	ds_read_b128 v[8:11], v22 offset:15120
	s_waitcnt lgkmcnt(0)
	v_add_f64 v[16:17], v[4:5], v[8:9]
	v_add_f64 v[18:19], v[10:11], v[6:7]
	v_add_f64 v[8:9], v[4:5], -v[8:9]
	v_add_f64 v[10:11], v[6:7], -v[10:11]
	s_waitcnt vmcnt(2)
	v_fma_f64 v[4:5], v[8:9], v[14:15], v[16:17]
	v_fma_f64 v[6:7], v[18:19], v[14:15], v[10:11]
	v_fma_f64 v[4:5], -v[18:19], v[12:13], v[4:5]
	v_fmac_f64_e32 v[6:7], v[8:9], v[12:13]
	ds_write_b128 v144, v[4:7] offset:9072
	;; [unrolled: 18-line block ×4, first 2 shown]
	v_fma_f64 v[4:5], -v[8:9], v[2:3], v[12:13]
	v_fma_f64 v[6:7], v[14:15], v[2:3], -v[10:11]
	v_fmac_f64_e32 v[4:5], v[14:15], v[0:1]
	v_fmac_f64_e32 v[6:7], v[8:9], v[0:1]
	ds_write_b128 v22, v[4:7] offset:13104
	s_waitcnt lgkmcnt(0)
	; wave barrier
	s_waitcnt lgkmcnt(0)
	s_waitcnt lgkmcnt(0)
	; wave barrier
	s_waitcnt lgkmcnt(0)
	ds_read_b128 v[32:35], v144
	ds_read_b128 v[0:3], v144 offset:1008
	ds_read_b128 v[36:39], v144 offset:12096
	;; [unrolled: 1-line block ×9, first 2 shown]
	s_waitcnt lgkmcnt(7)
	v_add_f64 v[78:79], v[32:33], -v[36:37]
	v_add_f64 v[80:81], v[34:35], -v[38:39]
	v_fma_f64 v[82:83], v[32:33], 2.0, -v[78:79]
	v_fma_f64 v[84:85], v[34:35], 2.0, -v[80:81]
	s_waitcnt lgkmcnt(6)
	v_add_f64 v[20:21], v[0:1], -v[20:21]
	v_add_f64 v[22:23], v[2:3], -v[22:23]
	ds_read_b128 v[86:89], v144 offset:16128
	ds_read_b128 v[90:93], v144 offset:17136
	;; [unrolled: 1-line block ×14, first 2 shown]
	s_waitcnt lgkmcnt(0)
	; wave barrier
	s_waitcnt lgkmcnt(0)
	ds_write_b128 v73, v[82:85]
	ds_write_b128 v73, v[78:81] offset:16
	v_fma_f64 v[0:1], v[0:1], 2.0, -v[20:21]
	v_fma_f64 v[2:3], v[2:3], 2.0, -v[22:23]
	v_lshl_add_u32 v73, v75, 5, 0
	ds_write_b128 v73, v[0:3]
	ds_write_b128 v73, v[20:23] offset:16
	v_add_f64 v[0:1], v[4:5], -v[28:29]
	v_add_f64 v[2:3], v[6:7], -v[30:31]
	v_add_u32_e32 v73, 0x7e, v114
	v_fma_f64 v[4:5], v[4:5], 2.0, -v[0:1]
	v_fma_f64 v[6:7], v[6:7], 2.0, -v[2:3]
	v_lshl_add_u32 v20, v73, 5, 0
	ds_write_b128 v20, v[4:7]
	ds_write_b128 v20, v[0:3] offset:16
	v_add_f64 v[0:1], v[8:9], -v[24:25]
	v_add_f64 v[2:3], v[10:11], -v[26:27]
	v_fma_f64 v[4:5], v[8:9], 2.0, -v[0:1]
	v_fma_f64 v[6:7], v[10:11], 2.0, -v[2:3]
	v_lshl_add_u32 v8, v115, 5, 0
	ds_write_b128 v8, v[4:7]
	ds_write_b128 v8, v[0:3] offset:16
	v_add_f64 v[0:1], v[12:13], -v[86:87]
	v_add_f64 v[2:3], v[14:15], -v[88:89]
	;; [unrolled: 7-line block ×4, first 2 shown]
	v_fma_f64 v[4:5], v[100:101], 2.0, -v[0:1]
	v_fma_f64 v[6:7], v[102:103], 2.0, -v[2:3]
	v_lshl_add_u32 v8, v76, 5, 0
	v_add_f64 v[24:25], v[36:37], -v[52:53]
	ds_write_b128 v8, v[4:7]
	ds_write_b128 v8, v[0:3] offset:16
	v_add_f64 v[0:1], v[56:57], -v[68:69]
	v_add_f64 v[16:17], v[40:41], -v[60:61]
	v_fma_f64 v[28:29], v[36:37], 2.0, -v[24:25]
	v_add_f64 v[36:37], v[32:33], -v[44:45]
	v_add_f64 v[2:3], v[58:59], -v[70:71]
	v_fma_f64 v[4:5], v[56:57], 2.0, -v[0:1]
	;; [unrolled: 3-line block ×3, first 2 shown]
	v_fma_f64 v[40:41], v[32:33], 2.0, -v[36:37]
	v_add_u32_e32 v56, 0x1f8, v114
	v_lshl_add_u32 v32, v74, 5, 0
	v_fma_f64 v[6:7], v[58:59], 2.0, -v[2:3]
	v_fma_f64 v[12:13], v[48:49], 2.0, -v[8:9]
	;; [unrolled: 1-line block ×3, first 2 shown]
	v_add_f64 v[18:19], v[42:43], -v[62:63]
	v_add_f64 v[26:27], v[38:39], -v[54:55]
	v_add_u32_e32 v55, 0x237, v114
	ds_write_b128 v32, v[0:3] offset:16
	v_lshl_add_u32 v0, v56, 5, 0
	v_fma_f64 v[22:23], v[42:43], 2.0, -v[18:19]
	ds_write_b128 v32, v[4:7]
	v_add_u32_e32 v54, 0x276, v114
	ds_write_b128 v0, v[12:15]
	ds_write_b128 v0, v[8:11] offset:16
	v_lshl_add_u32 v0, v55, 5, 0
	v_fma_f64 v[30:31], v[38:39], 2.0, -v[26:27]
	v_add_f64 v[38:39], v[34:35], -v[46:47]
	v_add_u32_e32 v33, 0x2b5, v114
	ds_write_b128 v0, v[20:23]
	ds_write_b128 v0, v[16:19] offset:16
	v_lshl_add_u32 v0, v54, 5, 0
	v_fma_f64 v[42:43], v[34:35], 2.0, -v[38:39]
	ds_write_b128 v0, v[28:31]
	ds_write_b128 v0, v[24:27] offset:16
	v_lshl_add_u32 v0, v33, 5, 0
	v_and_b32_e32 v57, 1, v115
	ds_write_b128 v0, v[40:43]
	ds_write_b128 v0, v[36:39] offset:16
	v_lshlrev_b32_e32 v0, 4, v57
	s_waitcnt lgkmcnt(0)
	; wave barrier
	s_waitcnt lgkmcnt(0)
	global_load_dwordx4 v[0:3], v0, s[8:9]
	v_lshlrev_b32_e32 v4, 4, v77
	global_load_dwordx4 v[4:7], v4, s[8:9]
	v_lshlrev_b32_e32 v8, 4, v120
	global_load_dwordx4 v[8:11], v8, s[8:9]
	v_and_b32_e32 v121, 1, v55
	v_lshlrev_b32_e32 v16, 4, v122
	v_lshlrev_b32_e32 v12, 4, v121
	global_load_dwordx4 v[12:15], v12, s[8:9]
	v_and_b32_e32 v123, 1, v33
	global_load_dwordx4 v[16:19], v16, s[8:9]
	v_lshlrev_b32_e32 v20, 4, v123
	global_load_dwordx2 v[34:35], v20, s[8:9] offset:8
	global_load_dwordx4 v[58:61], v20, s[8:9]
	v_lshlrev_b32_e32 v20, 4, v124
	global_load_dwordx2 v[62:63], v20, s[8:9]
	ds_read_b128 v[20:23], v144 offset:15120
	ds_read_b128 v[24:27], v144 offset:14112
	;; [unrolled: 1-line block ×5, first 2 shown]
	v_lshlrev_b32_e32 v32, 1, v114
	v_and_or_b32 v125, v32, s4, v122
	v_lshl_add_u32 v125, v125, 4, 0
	s_movk_i32 s4, 0xfc
	v_and_b32_e32 v130, 3, v55
	v_and_b32_e32 v132, 3, v54
	v_and_b32_e32 v133, 3, v73
	s_waitcnt vmcnt(7) lgkmcnt(4)
	v_mul_f64 v[50:51], v[22:23], v[2:3]
	v_mul_f64 v[2:3], v[20:21], v[2:3]
	v_fmac_f64_e32 v[50:51], v[20:21], v[0:1]
	v_fma_f64 v[52:53], v[22:23], v[0:1], -v[2:3]
	ds_read_b128 v[20:23], v144 offset:19152
	ds_read_b128 v[0:3], v144 offset:16128
	s_waitcnt vmcnt(6) lgkmcnt(4)
	v_mul_f64 v[42:43], v[30:31], v[6:7]
	v_mul_f64 v[6:7], v[28:29], v[6:7]
	v_fmac_f64_e32 v[42:43], v[28:29], v[4:5]
	v_fma_f64 v[44:45], v[30:31], v[4:5], -v[6:7]
	ds_read_b128 v[4:7], v144 offset:18144
	s_waitcnt vmcnt(5) lgkmcnt(2)
	v_mul_f64 v[28:29], v[22:23], v[10:11]
	v_mul_f64 v[10:11], v[20:21], v[10:11]
	v_fmac_f64_e32 v[28:29], v[20:21], v[8:9]
	v_fma_f64 v[36:37], v[22:23], v[8:9], -v[10:11]
	ds_read_b128 v[8:11], v144 offset:20160
	s_waitcnt vmcnt(3) lgkmcnt(2)
	v_mul_f64 v[104:105], v[2:3], v[18:19]
	v_mul_f64 v[20:21], v[40:41], v[14:15]
	v_mul_f64 v[14:15], v[38:39], v[14:15]
	v_fmac_f64_e32 v[104:105], v[0:1], v[16:17]
	v_mul_f64 v[0:1], v[0:1], v[18:19]
	v_fmac_f64_e32 v[20:21], v[38:39], v[12:13]
	v_fma_f64 v[22:23], v[40:41], v[12:13], -v[14:15]
	ds_read_b128 v[12:15], v144 offset:13104
	v_mul_f64 v[64:65], v[48:49], v[18:19]
	v_mul_f64 v[30:31], v[46:47], v[18:19]
	v_fma_f64 v[106:107], v[2:3], v[16:17], -v[0:1]
	s_waitcnt lgkmcnt(2)
	v_mul_f64 v[0:1], v[4:5], v[18:19]
	v_fmac_f64_e32 v[64:65], v[46:47], v[16:17]
	v_fma_f64 v[66:67], v[48:49], v[16:17], -v[30:31]
	v_mul_f64 v[46:47], v[6:7], v[18:19]
	v_fma_f64 v[48:49], v[6:7], v[16:17], -v[0:1]
	ds_read_b128 v[0:3], v144 offset:22176
	v_fmac_f64_e32 v[46:47], v[4:5], v[16:17]
	s_waitcnt lgkmcnt(2)
	v_mul_f64 v[4:5], v[8:9], v[18:19]
	v_fma_f64 v[40:41], v[10:11], v[16:17], -v[4:5]
	ds_read_b128 v[4:7], v144 offset:23184
	v_mul_f64 v[70:71], v[26:27], v[18:19]
	v_fmac_f64_e32 v[70:71], v[24:25], v[16:17]
	v_mul_f64 v[24:25], v[24:25], v[18:19]
	v_fma_f64 v[94:95], v[26:27], v[16:17], -v[24:25]
	s_waitcnt lgkmcnt(1)
	v_mul_f64 v[24:25], v[2:3], v[18:19]
	v_fmac_f64_e32 v[24:25], v[0:1], v[16:17]
	v_mul_f64 v[0:1], v[0:1], v[18:19]
	v_fma_f64 v[30:31], v[2:3], v[16:17], -v[0:1]
	s_waitcnt vmcnt(2) lgkmcnt(0)
	v_mul_f64 v[0:1], v[4:5], v[34:35]
	v_mul_f64 v[26:27], v[6:7], v[34:35]
	s_waitcnt vmcnt(1)
	v_fma_f64 v[34:35], v[6:7], v[58:59], -v[0:1]
	ds_read_b128 v[0:3], v144
	v_fmac_f64_e32 v[26:27], v[4:5], v[58:59]
	v_mul_f64 v[108:109], v[14:15], v[60:61]
	v_mul_f64 v[4:5], v[12:13], v[60:61]
	ds_read_b128 v[58:61], v144 offset:1008
	s_waitcnt vmcnt(0)
	v_fmac_f64_e32 v[108:109], v[12:13], v[62:63]
	v_fma_f64 v[110:111], v[14:15], v[62:63], -v[4:5]
	s_waitcnt lgkmcnt(1)
	v_add_f64 v[62:63], v[0:1], -v[64:65]
	v_add_f64 v[64:65], v[2:3], -v[66:67]
	v_mul_f64 v[38:39], v[10:11], v[18:19]
	v_fma_f64 v[66:67], v[0:1], 2.0, -v[62:63]
	v_fma_f64 v[68:69], v[2:3], 2.0, -v[64:65]
	v_fmac_f64_e32 v[38:39], v[8:9], v[16:17]
	ds_read_b128 v[78:81], v144 offset:2016
	ds_read_b128 v[82:85], v144 offset:3024
	ds_read_b128 v[86:89], v96
	ds_read_b128 v[90:93], v97
	;; [unrolled: 1-line block ×4, first 2 shown]
	ds_read_b128 v[12:15], v144 offset:8064
	ds_read_b128 v[8:11], v144 offset:9072
	;; [unrolled: 1-line block ×4, first 2 shown]
	s_waitcnt lgkmcnt(0)
	; wave barrier
	s_waitcnt lgkmcnt(0)
	ds_write_b128 v125, v[66:69]
	ds_write_b128 v125, v[62:65] offset:32
	v_add_f64 v[62:63], v[58:59], -v[108:109]
	v_fma_f64 v[66:67], v[58:59], 2.0, -v[62:63]
	v_lshlrev_b32_e32 v59, 1, v75
	v_add_f64 v[64:65], v[60:61], -v[110:111]
	v_and_or_b32 v58, v59, s4, v124
	v_fma_f64 v[68:69], v[60:61], 2.0, -v[64:65]
	v_lshl_add_u32 v58, v58, 4, 0
	s_movk_i32 s4, 0x1fc
	v_lshlrev_b32_e32 v60, 1, v73
	ds_write_b128 v58, v[66:69]
	ds_write_b128 v58, v[62:65] offset:32
	v_add_f64 v[62:63], v[78:79], -v[70:71]
	v_add_f64 v[64:65], v[80:81], -v[94:95]
	v_and_or_b32 v58, v60, s4, v122
	v_lshlrev_b32_e32 v61, 1, v115
	v_fma_f64 v[66:67], v[78:79], 2.0, -v[62:63]
	v_fma_f64 v[68:69], v[80:81], 2.0, -v[64:65]
	v_lshl_add_u32 v58, v58, 4, 0
	v_add_f64 v[50:51], v[82:83], -v[50:51]
	v_add_f64 v[52:53], v[84:85], -v[52:53]
	v_and_or_b32 v57, v61, s4, v57
	ds_write_b128 v58, v[66:69]
	ds_write_b128 v58, v[62:65] offset:32
	v_fma_f64 v[62:63], v[82:83], 2.0, -v[50:51]
	v_fma_f64 v[64:65], v[84:85], 2.0, -v[52:53]
	v_lshl_add_u32 v57, v57, 4, 0
	ds_write_b128 v57, v[62:65]
	ds_write_b128 v57, v[50:53] offset:32
	s_movk_i32 s4, 0x3fc
	v_lshlrev_b32_e32 v62, 1, v118
	v_add_f64 v[50:51], v[86:87], -v[104:105]
	v_add_f64 v[52:53], v[88:89], -v[106:107]
	v_and_or_b32 v57, v62, s4, v122
	v_fma_f64 v[64:65], v[86:87], 2.0, -v[50:51]
	v_fma_f64 v[66:67], v[88:89], 2.0, -v[52:53]
	v_lshl_add_u32 v57, v57, 4, 0
	v_lshlrev_b32_e32 v63, 1, v72
	ds_write_b128 v57, v[64:67]
	ds_write_b128 v57, v[50:53] offset:32
	v_add_f64 v[42:43], v[90:91], -v[42:43]
	v_add_f64 v[44:45], v[92:93], -v[44:45]
	v_and_or_b32 v57, v63, s5, v77
	v_fma_f64 v[50:51], v[90:91], 2.0, -v[42:43]
	v_fma_f64 v[52:53], v[92:93], 2.0, -v[44:45]
	v_lshl_add_u32 v57, v57, 4, 0
	v_lshlrev_b32_e32 v64, 1, v76
	ds_write_b128 v57, v[50:53]
	ds_write_b128 v57, v[42:45] offset:32
	;; [unrolled: 9-line block ×3, first 2 shown]
	v_add_f64 v[42:43], v[16:17], -v[28:29]
	v_add_f64 v[44:45], v[18:19], -v[36:37]
	v_and_or_b32 v28, v65, s4, v120
	v_fma_f64 v[16:17], v[16:17], 2.0, -v[42:43]
	v_fma_f64 v[18:19], v[18:19], 2.0, -v[44:45]
	v_lshl_add_u32 v28, v28, 4, 0
	v_lshlrev_b32_e32 v57, 1, v56
	s_movk_i32 s4, 0x7fc
	ds_write_b128 v28, v[16:19]
	ds_write_b128 v28, v[42:45] offset:32
	v_add_f64 v[16:17], v[12:13], -v[38:39]
	v_add_f64 v[18:19], v[14:15], -v[40:41]
	v_and_or_b32 v28, v57, s4, v122
	v_fma_f64 v[12:13], v[12:13], 2.0, -v[16:17]
	v_fma_f64 v[14:15], v[14:15], 2.0, -v[18:19]
	v_lshl_add_u32 v28, v28, 4, 0
	v_lshlrev_b32_e32 v66, 1, v55
	s_movk_i32 s4, 0x4fc
	ds_write_b128 v28, v[12:15]
	ds_write_b128 v28, v[16:19] offset:32
	v_add_f64 v[12:13], v[8:9], -v[20:21]
	v_add_f64 v[14:15], v[10:11], -v[22:23]
	v_add_f64 v[16:17], v[4:5], -v[24:25]
	v_and_or_b32 v24, v66, s4, v121
	v_fma_f64 v[8:9], v[8:9], 2.0, -v[12:13]
	v_fma_f64 v[10:11], v[10:11], 2.0, -v[14:15]
	v_lshlrev_b32_e32 v58, 1, v54
	v_lshl_add_u32 v24, v24, 4, 0
	s_movk_i32 s4, 0x5fc
	v_add_f64 v[18:19], v[6:7], -v[30:31]
	ds_write_b128 v24, v[8:11]
	v_and_or_b32 v8, v58, s4, v122
	v_fma_f64 v[4:5], v[4:5], 2.0, -v[16:17]
	v_fma_f64 v[6:7], v[6:7], 2.0, -v[18:19]
	v_lshlrev_b32_e32 v56, 1, v33
	v_lshl_add_u32 v8, v8, 4, 0
	v_add_f64 v[20:21], v[0:1], -v[26:27]
	v_add_f64 v[22:23], v[2:3], -v[34:35]
	ds_write_b128 v24, v[12:15] offset:32
	ds_write_b128 v8, v[4:7]
	ds_write_b128 v8, v[16:19] offset:32
	v_and_or_b32 v4, v56, s4, v123
	v_fma_f64 v[0:1], v[0:1], 2.0, -v[20:21]
	v_fma_f64 v[2:3], v[2:3], 2.0, -v[22:23]
	v_lshl_add_u32 v4, v4, 4, 0
	v_and_b32_e32 v67, 3, v72
	ds_write_b128 v4, v[0:3]
	ds_write_b128 v4, v[20:23] offset:32
	v_lshlrev_b32_e32 v0, 4, v67
	v_and_b32_e32 v77, 3, v76
	s_waitcnt lgkmcnt(0)
	; wave barrier
	s_waitcnt lgkmcnt(0)
	global_load_dwordx4 v[0:3], v0, s[8:9] offset:32
	v_lshlrev_b32_e32 v4, 4, v77
	global_load_dwordx4 v[4:7], v4, s[8:9] offset:32
	v_lshlrev_b32_e32 v8, 4, v128
	global_load_dwordx4 v[8:11], v8, s[8:9] offset:32
	v_lshlrev_b32_e32 v12, 4, v129
	global_load_dwordx4 v[12:15], v12, s[8:9] offset:32
	v_lshlrev_b32_e32 v20, 4, v130
	global_load_dwordx2 v[40:41], v20, s[8:9] offset:40
	global_load_dwordx4 v[16:19], v20, s[8:9] offset:32
	v_lshlrev_b32_e32 v20, 4, v131
	global_load_dwordx2 v[44:45], v20, s[8:9] offset:32
	v_lshlrev_b32_e32 v20, 4, v132
	global_load_dwordx2 v[54:55], v20, s[8:9] offset:40
	global_load_dwordx4 v[68:71], v20, s[8:9] offset:32
	v_lshlrev_b32_e32 v20, 4, v133
	v_and_b32_e32 v33, 3, v33
	global_load_dwordx2 v[82:83], v20, s[8:9] offset:32
	v_lshlrev_b32_e32 v20, 4, v33
	global_load_dwordx2 v[84:85], v20, s[8:9] offset:40
	global_load_dwordx4 v[78:81], v20, s[8:9] offset:32
	v_lshlrev_b32_e32 v20, 4, v134
	global_load_dwordx2 v[86:87], v20, s[8:9] offset:32
	ds_read_b128 v[20:23], v144 offset:17136
	ds_read_b128 v[24:27], v144 offset:18144
	ds_read_b128 v[28:31], v144 offset:19152
	ds_read_b128 v[34:37], v144 offset:16128
	s_movk_i32 s4, 0x78
	v_and_or_b32 v135, v32, s4, v129
	v_lshl_add_u32 v135, v135, 4, 0
	s_movk_i32 s4, 0xf8
	v_and_or_b32 v59, v59, s4, v131
	v_lshl_add_u32 v59, v59, 4, 0
	s_movk_i32 s4, 0x1f8
	s_movk_i32 s5, 0x2f8
	s_waitcnt vmcnt(12) lgkmcnt(3)
	v_mul_f64 v[46:47], v[22:23], v[2:3]
	v_mul_f64 v[2:3], v[20:21], v[2:3]
	v_fmac_f64_e32 v[46:47], v[20:21], v[0:1]
	v_fma_f64 v[48:49], v[22:23], v[0:1], -v[2:3]
	s_waitcnt vmcnt(11) lgkmcnt(2)
	v_mul_f64 v[0:1], v[24:25], v[6:7]
	v_fma_f64 v[42:43], v[26:27], v[4:5], -v[0:1]
	ds_read_b128 v[0:3], v144 offset:12096
	v_mul_f64 v[38:39], v[26:27], v[6:7]
	v_fmac_f64_e32 v[38:39], v[24:25], v[4:5]
	s_waitcnt vmcnt(10) lgkmcnt(2)
	v_mul_f64 v[4:5], v[28:29], v[10:11]
	v_mul_f64 v[20:21], v[30:31], v[10:11]
	v_fma_f64 v[30:31], v[30:31], v[8:9], -v[4:5]
	ds_read_b128 v[4:7], v144 offset:13104
	s_waitcnt vmcnt(9) lgkmcnt(1)
	v_mul_f64 v[88:89], v[2:3], v[14:15]
	v_fmac_f64_e32 v[88:89], v[0:1], v[12:13]
	v_mul_f64 v[0:1], v[0:1], v[14:15]
	v_fmac_f64_e32 v[20:21], v[28:29], v[8:9]
	v_fma_f64 v[90:91], v[2:3], v[12:13], -v[0:1]
	ds_read_b128 v[0:3], v144 offset:20160
	v_mul_f64 v[8:9], v[34:35], v[14:15]
	v_fma_f64 v[52:53], v[36:37], v[12:13], -v[8:9]
	ds_read_b128 v[8:11], v144 offset:21168
	s_waitcnt vmcnt(7) lgkmcnt(2)
	v_mul_f64 v[94:95], v[6:7], v[18:19]
	s_waitcnt lgkmcnt(1)
	v_mul_f64 v[22:23], v[2:3], v[14:15]
	v_fmac_f64_e32 v[22:23], v[0:1], v[12:13]
	v_mul_f64 v[0:1], v[0:1], v[14:15]
	s_waitcnt lgkmcnt(0)
	v_mul_f64 v[24:25], v[10:11], v[40:41]
	v_fma_f64 v[26:27], v[2:3], v[12:13], -v[0:1]
	v_fmac_f64_e32 v[24:25], v[8:9], v[16:17]
	v_mul_f64 v[0:1], v[8:9], v[40:41]
	v_mul_f64 v[8:9], v[4:5], v[18:19]
	v_fma_f64 v[28:29], v[10:11], v[16:17], -v[0:1]
	ds_read_b128 v[0:3], v144 offset:22176
	s_waitcnt vmcnt(6)
	v_fmac_f64_e32 v[94:95], v[4:5], v[44:45]
	v_fma_f64 v[120:121], v[6:7], v[44:45], -v[8:9]
	ds_read_b128 v[4:7], v144 offset:23184
	v_mul_f64 v[50:51], v[36:37], v[14:15]
	ds_read_b128 v[8:11], v144 offset:14112
	v_fmac_f64_e32 v[50:51], v[34:35], v[12:13]
	s_waitcnt vmcnt(5) lgkmcnt(2)
	v_mul_f64 v[34:35], v[2:3], v[54:55]
	s_waitcnt vmcnt(2) lgkmcnt(1)
	v_mul_f64 v[40:41], v[6:7], v[84:85]
	v_fmac_f64_e32 v[34:35], v[0:1], v[68:69]
	v_mul_f64 v[0:1], v[0:1], v[54:55]
	s_waitcnt vmcnt(1)
	v_fmac_f64_e32 v[40:41], v[4:5], v[78:79]
	v_mul_f64 v[4:5], v[4:5], v[84:85]
	v_fma_f64 v[36:37], v[2:3], v[68:69], -v[0:1]
	ds_read_b128 v[0:3], v144 offset:15120
	v_fma_f64 v[44:45], v[6:7], v[78:79], -v[4:5]
	ds_read_b128 v[4:7], v144
	s_waitcnt lgkmcnt(2)
	v_mul_f64 v[54:55], v[10:11], v[70:71]
	v_mul_f64 v[12:13], v[8:9], v[70:71]
	ds_read_b128 v[68:71], v144 offset:1008
	v_fmac_f64_e32 v[54:55], v[8:9], v[82:83]
	s_waitcnt lgkmcnt(2)
	v_mul_f64 v[124:125], v[2:3], v[80:81]
	v_mul_f64 v[8:9], v[0:1], v[80:81]
	s_waitcnt lgkmcnt(1)
	v_add_f64 v[78:79], v[4:5], -v[88:89]
	v_add_f64 v[80:81], v[6:7], -v[90:91]
	v_fma_f64 v[122:123], v[10:11], v[82:83], -v[12:13]
	v_fma_f64 v[82:83], v[4:5], 2.0, -v[78:79]
	v_fma_f64 v[84:85], v[6:7], 2.0, -v[80:81]
	s_waitcnt vmcnt(0)
	v_fmac_f64_e32 v[124:125], v[0:1], v[86:87]
	v_fma_f64 v[126:127], v[2:3], v[86:87], -v[8:9]
	ds_read_b128 v[86:89], v144 offset:2016
	ds_read_b128 v[90:93], v144 offset:3024
	ds_read_b128 v[100:103], v96
	ds_read_b128 v[104:107], v97
	ds_read_b128 v[108:111], v98
	ds_read_b128 v[16:19], v99
	ds_read_b128 v[12:15], v144 offset:8064
	ds_read_b128 v[8:11], v144 offset:9072
	;; [unrolled: 1-line block ×4, first 2 shown]
	s_waitcnt lgkmcnt(0)
	; wave barrier
	s_waitcnt lgkmcnt(0)
	ds_write_b128 v135, v[82:85]
	ds_write_b128 v135, v[78:81] offset:64
	v_add_f64 v[78:79], v[68:69], -v[94:95]
	v_add_f64 v[80:81], v[70:71], -v[120:121]
	v_fma_f64 v[68:69], v[68:69], 2.0, -v[78:79]
	v_fma_f64 v[70:71], v[70:71], 2.0, -v[80:81]
	ds_write_b128 v59, v[68:71]
	ds_write_b128 v59, v[78:81] offset:64
	v_add_f64 v[68:69], v[86:87], -v[54:55]
	v_add_f64 v[70:71], v[88:89], -v[122:123]
	v_and_or_b32 v54, v60, s4, v133
	v_fma_f64 v[78:79], v[86:87], 2.0, -v[68:69]
	v_fma_f64 v[80:81], v[88:89], 2.0, -v[70:71]
	v_lshl_add_u32 v54, v54, 4, 0
	ds_write_b128 v54, v[78:81]
	ds_write_b128 v54, v[68:71] offset:64
	v_add_f64 v[68:69], v[90:91], -v[124:125]
	v_add_f64 v[70:71], v[92:93], -v[126:127]
	v_and_or_b32 v54, v61, s4, v134
	v_fma_f64 v[78:79], v[90:91], 2.0, -v[68:69]
	v_fma_f64 v[80:81], v[92:93], 2.0, -v[70:71]
	v_lshl_add_u32 v54, v54, 4, 0
	s_movk_i32 s4, 0x3f8
	ds_write_b128 v54, v[78:81]
	ds_write_b128 v54, v[68:71] offset:64
	v_add_f64 v[50:51], v[100:101], -v[50:51]
	v_add_f64 v[52:53], v[102:103], -v[52:53]
	v_and_or_b32 v54, v62, s4, v129
	v_fma_f64 v[68:69], v[100:101], 2.0, -v[50:51]
	v_fma_f64 v[70:71], v[102:103], 2.0, -v[52:53]
	v_lshl_add_u32 v54, v54, 4, 0
	ds_write_b128 v54, v[68:71]
	ds_write_b128 v54, v[50:53] offset:64
	v_add_f64 v[46:47], v[104:105], -v[46:47]
	v_add_f64 v[48:49], v[106:107], -v[48:49]
	v_and_or_b32 v54, v63, s5, v67
	v_fma_f64 v[50:51], v[104:105], 2.0, -v[46:47]
	v_fma_f64 v[52:53], v[106:107], 2.0, -v[48:49]
	v_lshl_add_u32 v54, v54, 4, 0
	;; [unrolled: 8-line block ×4, first 2 shown]
	s_movk_i32 s4, 0x7f8
	ds_write_b128 v20, v[16:19]
	ds_write_b128 v20, v[46:49] offset:64
	v_add_f64 v[16:17], v[12:13], -v[22:23]
	v_add_f64 v[18:19], v[14:15], -v[26:27]
	v_add_f64 v[20:21], v[8:9], -v[24:25]
	v_add_f64 v[24:25], v[4:5], -v[34:35]
	v_and_or_b32 v34, v57, s4, v129
	v_fma_f64 v[12:13], v[12:13], 2.0, -v[16:17]
	v_fma_f64 v[14:15], v[14:15], 2.0, -v[18:19]
	v_lshl_add_u32 v34, v34, 4, 0
	s_movk_i32 s4, 0x4f8
	v_add_f64 v[22:23], v[10:11], -v[28:29]
	ds_write_b128 v34, v[12:15]
	ds_write_b128 v34, v[16:19] offset:64
	v_and_or_b32 v12, v66, s4, v130
	v_fma_f64 v[8:9], v[8:9], 2.0, -v[20:21]
	v_fma_f64 v[10:11], v[10:11], 2.0, -v[22:23]
	v_lshl_add_u32 v12, v12, 4, 0
	s_movk_i32 s4, 0x5f8
	v_add_f64 v[26:27], v[6:7], -v[36:37]
	ds_write_b128 v12, v[8:11]
	ds_write_b128 v12, v[20:23] offset:64
	v_and_or_b32 v8, v58, s4, v132
	v_fma_f64 v[4:5], v[4:5], 2.0, -v[24:25]
	v_fma_f64 v[6:7], v[6:7], 2.0, -v[26:27]
	v_lshl_add_u32 v8, v8, 4, 0
	v_add_f64 v[28:29], v[0:1], -v[40:41]
	v_add_f64 v[30:31], v[2:3], -v[44:45]
	ds_write_b128 v8, v[4:7]
	ds_write_b128 v8, v[24:27] offset:64
	v_and_or_b32 v4, v56, s4, v33
	v_fma_f64 v[0:1], v[0:1], 2.0, -v[28:29]
	v_fma_f64 v[2:3], v[2:3], 2.0, -v[30:31]
	v_lshl_add_u32 v4, v4, 4, 0
	v_and_b32_e32 v90, 7, v114
	ds_write_b128 v4, v[0:3]
	ds_write_b128 v4, v[28:31] offset:64
	v_lshlrev_b32_e32 v0, 5, v90
	s_waitcnt lgkmcnt(0)
	; wave barrier
	s_waitcnt lgkmcnt(0)
	global_load_dwordx4 v[4:7], v0, s[8:9] offset:96
	s_nop 0
	global_load_dwordx4 v[0:3], v0, s[8:9] offset:112
	v_and_b32_e32 v88, 7, v75
	v_lshlrev_b32_e32 v16, 5, v88
	global_load_dwordx4 v[12:15], v16, s[8:9] offset:96
	global_load_dwordx4 v[8:11], v16, s[8:9] offset:112
	v_and_b32_e32 v89, 7, v73
	v_lshlrev_b32_e32 v24, 5, v89
	global_load_dwordx4 v[16:19], v24, s[8:9] offset:96
	;; [unrolled: 4-line block ×7, first 2 shown]
	global_load_dwordx4 v[128:131], v42, s[8:9] offset:112
	ds_read_b128 v[42:45], v144 offset:8064
	ds_read_b128 v[46:49], v144 offset:9072
	ds_read_b128 v[50:53], v144 offset:16128
	s_mov_b32 s4, 0xe8584caa
	s_mov_b32 s5, 0xbfebb67a
	s_mov_b32 s10, s4
	s_waitcnt vmcnt(15) lgkmcnt(2)
	v_mul_f64 v[80:81], v[44:45], v[6:7]
	v_mul_f64 v[6:7], v[42:43], v[6:7]
	v_fmac_f64_e32 v[80:81], v[42:43], v[4:5]
	v_fma_f64 v[82:83], v[44:45], v[4:5], -v[6:7]
	ds_read_b128 v[4:7], v144 offset:17136
	s_waitcnt vmcnt(14) lgkmcnt(1)
	v_mul_f64 v[84:85], v[52:53], v[2:3]
	v_mul_f64 v[2:3], v[50:51], v[2:3]
	v_fmac_f64_e32 v[84:85], v[50:51], v[0:1]
	v_fma_f64 v[86:87], v[52:53], v[0:1], -v[2:3]
	s_waitcnt vmcnt(13)
	v_mul_f64 v[0:1], v[46:47], v[14:15]
	v_fma_f64 v[70:71], v[48:49], v[12:13], -v[0:1]
	s_waitcnt vmcnt(12) lgkmcnt(0)
	v_mul_f64 v[68:69], v[6:7], v[10:11]
	ds_read_b128 v[0:3], v144 offset:10080
	v_fmac_f64_e32 v[68:69], v[4:5], v[8:9]
	v_mul_f64 v[4:5], v[4:5], v[10:11]
	v_fma_f64 v[78:79], v[6:7], v[8:9], -v[4:5]
	ds_read_b128 v[4:7], v144 offset:11088
	s_waitcnt vmcnt(11) lgkmcnt(1)
	v_mul_f64 v[58:59], v[2:3], v[18:19]
	v_fmac_f64_e32 v[58:59], v[0:1], v[16:17]
	v_mul_f64 v[0:1], v[0:1], v[18:19]
	ds_read_b128 v[8:11], v144 offset:18144
	v_fma_f64 v[60:61], v[2:3], v[16:17], -v[0:1]
	ds_read_b128 v[0:3], v144 offset:19152
	s_waitcnt vmcnt(9) lgkmcnt(2)
	v_mul_f64 v[50:51], v[6:7], v[26:27]
	v_fmac_f64_e32 v[50:51], v[4:5], v[24:25]
	v_mul_f64 v[4:5], v[4:5], v[26:27]
	v_fma_f64 v[54:55], v[6:7], v[24:25], -v[4:5]
	ds_read_b128 v[4:7], v144 offset:12096
	s_waitcnt vmcnt(8) lgkmcnt(1)
	v_mul_f64 v[52:53], v[2:3], v[30:31]
	v_fmac_f64_e32 v[52:53], v[0:1], v[28:29]
	v_mul_f64 v[0:1], v[0:1], v[30:31]
	v_mul_f64 v[62:63], v[10:11], v[22:23]
	v_fma_f64 v[56:57], v[2:3], v[28:29], -v[0:1]
	ds_read_b128 v[0:3], v144 offset:13104
	s_waitcnt vmcnt(7) lgkmcnt(1)
	v_mul_f64 v[42:43], v[6:7], v[36:37]
	v_fmac_f64_e32 v[62:63], v[8:9], v[20:21]
	v_mul_f64 v[8:9], v[8:9], v[22:23]
	v_fmac_f64_e32 v[42:43], v[4:5], v[34:35]
	v_mul_f64 v[4:5], v[4:5], v[36:37]
	v_fma_f64 v[64:65], v[10:11], v[20:21], -v[8:9]
	ds_read_b128 v[8:11], v144 offset:20160
	v_fma_f64 v[44:45], v[6:7], v[34:35], -v[4:5]
	ds_read_b128 v[4:7], v144 offset:21168
	s_waitcnt vmcnt(5) lgkmcnt(2)
	v_mul_f64 v[24:25], v[2:3], v[102:103]
	v_fmac_f64_e32 v[24:25], v[0:1], v[100:101]
	v_mul_f64 v[0:1], v[0:1], v[102:103]
	v_mul_f64 v[66:67], v[48:49], v[14:15]
	v_fma_f64 v[34:35], v[2:3], v[100:101], -v[0:1]
	s_waitcnt vmcnt(4) lgkmcnt(0)
	v_mul_f64 v[30:31], v[6:7], v[106:107]
	ds_read_b128 v[0:3], v144 offset:14112
	v_fmac_f64_e32 v[66:67], v[46:47], v[12:13]
	v_mul_f64 v[46:47], v[10:11], v[40:41]
	v_fmac_f64_e32 v[30:31], v[4:5], v[104:105]
	v_mul_f64 v[4:5], v[4:5], v[106:107]
	;; [unrolled: 2-line block ×3, first 2 shown]
	v_fma_f64 v[40:41], v[6:7], v[104:105], -v[4:5]
	ds_read_b128 v[4:7], v144 offset:15120
	s_waitcnt vmcnt(3) lgkmcnt(1)
	v_mul_f64 v[18:19], v[2:3], v[110:111]
	v_fmac_f64_e32 v[18:19], v[0:1], v[108:109]
	v_mul_f64 v[0:1], v[0:1], v[110:111]
	v_fma_f64 v[48:49], v[10:11], v[38:39], -v[8:9]
	ds_read_b128 v[8:11], v144 offset:22176
	v_fma_f64 v[26:27], v[2:3], v[108:109], -v[0:1]
	ds_read_b128 v[0:3], v144 offset:23184
	s_waitcnt vmcnt(1) lgkmcnt(2)
	v_mul_f64 v[16:17], v[6:7], v[126:127]
	v_fmac_f64_e32 v[16:17], v[4:5], v[124:125]
	v_mul_f64 v[4:5], v[4:5], v[126:127]
	v_fma_f64 v[22:23], v[6:7], v[124:125], -v[4:5]
	ds_read_b128 v[4:7], v144
	s_waitcnt lgkmcnt(2)
	v_mul_f64 v[28:29], v[10:11], v[122:123]
	s_waitcnt vmcnt(0) lgkmcnt(1)
	v_mul_f64 v[20:21], v[2:3], v[130:131]
	v_lshrrev_b32_e32 v12, 3, v114
	v_fmac_f64_e32 v[28:29], v[8:9], v[120:121]
	v_mul_f64 v[8:9], v[8:9], v[122:123]
	v_fmac_f64_e32 v[20:21], v[0:1], v[128:129]
	v_mul_f64 v[0:1], v[0:1], v[130:131]
	v_mul_u32_u24_e32 v12, 24, v12
	v_fma_f64 v[38:39], v[10:11], v[120:121], -v[8:9]
	v_fma_f64 v[36:37], v[2:3], v[128:129], -v[0:1]
	ds_read_b128 v[0:3], v144 offset:1008
	s_waitcnt lgkmcnt(1)
	v_add_f64 v[8:9], v[4:5], v[80:81]
	v_add_f64 v[10:11], v[6:7], v[82:83]
	v_or_b32_e32 v90, v12, v90
	v_add_f64 v[8:9], v[8:9], v[84:85]
	v_add_f64 v[10:11], v[10:11], v[86:87]
	v_lshl_add_u32 v90, v90, 4, 0
	ds_read_b128 v[100:103], v144 offset:2016
	ds_read_b128 v[104:107], v144 offset:3024
	ds_read_b128 v[108:111], v96
	ds_read_b128 v[120:123], v97
	;; [unrolled: 1-line block ×4, first 2 shown]
	s_waitcnt lgkmcnt(0)
	; wave barrier
	s_waitcnt lgkmcnt(0)
	ds_write_b128 v90, v[8:11]
	v_add_f64 v[8:9], v[80:81], v[84:85]
	v_fmac_f64_e32 v[4:5], -0.5, v[8:9]
	v_add_f64 v[8:9], v[82:83], v[86:87]
	v_add_f64 v[94:95], v[82:83], -v[86:87]
	v_fmac_f64_e32 v[6:7], -0.5, v[8:9]
	v_add_f64 v[80:81], v[80:81], -v[84:85]
	v_fma_f64 v[8:9], s[4:5], v[94:95], v[4:5]
	v_fma_f64 v[10:11], s[10:11], v[80:81], v[6:7]
	ds_write_b128 v90, v[8:11] offset:128
	v_lshrrev_b32_e32 v8, 3, v75
	v_fmac_f64_e32 v[4:5], s[10:11], v[94:95]
	v_fmac_f64_e32 v[6:7], s[4:5], v[80:81]
	v_mul_u32_u24_e32 v8, 24, v8
	ds_write_b128 v90, v[4:7] offset:256
	v_add_f64 v[4:5], v[0:1], v[66:67]
	v_add_f64 v[6:7], v[2:3], v[70:71]
	v_or_b32_e32 v8, v8, v88
	v_add_f64 v[4:5], v[4:5], v[68:69]
	v_add_f64 v[6:7], v[6:7], v[78:79]
	v_lshl_add_u32 v80, v8, 4, 0
	ds_write_b128 v80, v[4:7]
	v_add_f64 v[4:5], v[66:67], v[68:69]
	v_fmac_f64_e32 v[0:1], -0.5, v[4:5]
	v_add_f64 v[4:5], v[70:71], v[78:79]
	v_add_f64 v[8:9], v[70:71], -v[78:79]
	v_fmac_f64_e32 v[2:3], -0.5, v[4:5]
	v_add_f64 v[10:11], v[66:67], -v[68:69]
	v_fma_f64 v[4:5], s[4:5], v[8:9], v[0:1]
	v_fma_f64 v[6:7], s[10:11], v[10:11], v[2:3]
	ds_write_b128 v80, v[4:7] offset:128
	v_lshrrev_b32_e32 v4, 3, v73
	v_fmac_f64_e32 v[0:1], s[10:11], v[8:9]
	v_fmac_f64_e32 v[2:3], s[4:5], v[10:11]
	v_mul_u32_u24_e32 v4, 24, v4
	ds_write_b128 v80, v[0:3] offset:256
	v_add_f64 v[0:1], v[100:101], v[58:59]
	v_add_f64 v[2:3], v[102:103], v[60:61]
	v_or_b32_e32 v4, v4, v89
	v_add_f64 v[0:1], v[0:1], v[62:63]
	v_add_f64 v[2:3], v[2:3], v[64:65]
	v_lshl_add_u32 v8, v4, 4, 0
	ds_write_b128 v8, v[0:3]
	v_add_f64 v[0:1], v[58:59], v[62:63]
	v_fmac_f64_e32 v[100:101], -0.5, v[0:1]
	v_add_f64 v[4:5], v[60:61], -v[64:65]
	v_add_f64 v[0:1], v[60:61], v[64:65]
	v_fmac_f64_e32 v[102:103], -0.5, v[0:1]
	v_add_f64 v[6:7], v[58:59], -v[62:63]
	v_fma_f64 v[0:1], s[4:5], v[4:5], v[100:101]
	v_fmac_f64_e32 v[100:101], s[10:11], v[4:5]
	v_lshrrev_b32_e32 v4, 3, v115
	v_fma_f64 v[2:3], s[10:11], v[6:7], v[102:103]
	v_mul_u32_u24_e32 v4, 24, v4
	ds_write_b128 v8, v[0:3] offset:128
	v_fmac_f64_e32 v[102:103], s[4:5], v[6:7]
	v_add_f64 v[0:1], v[104:105], v[50:51]
	v_add_f64 v[2:3], v[106:107], v[54:55]
	v_or_b32_e32 v4, v4, v93
	ds_write_b128 v8, v[100:103] offset:256
	v_add_f64 v[0:1], v[0:1], v[52:53]
	v_add_f64 v[2:3], v[2:3], v[56:57]
	v_lshl_add_u32 v8, v4, 4, 0
	ds_write_b128 v8, v[0:3]
	v_add_f64 v[0:1], v[50:51], v[52:53]
	v_fmac_f64_e32 v[104:105], -0.5, v[0:1]
	v_add_f64 v[4:5], v[54:55], -v[56:57]
	v_add_f64 v[0:1], v[54:55], v[56:57]
	v_fmac_f64_e32 v[106:107], -0.5, v[0:1]
	v_add_f64 v[6:7], v[50:51], -v[52:53]
	v_fma_f64 v[0:1], s[4:5], v[4:5], v[104:105]
	v_fmac_f64_e32 v[104:105], s[10:11], v[4:5]
	v_lshrrev_b32_e32 v4, 3, v118
	v_fma_f64 v[2:3], s[10:11], v[6:7], v[106:107]
	v_mul_lo_u32 v4, v4, 24
	ds_write_b128 v8, v[0:3] offset:128
	v_fmac_f64_e32 v[106:107], s[4:5], v[6:7]
	v_add_f64 v[0:1], v[108:109], v[42:43]
	v_add_f64 v[2:3], v[110:111], v[44:45]
	v_or_b32_e32 v4, v4, v92
	ds_write_b128 v8, v[104:107] offset:256
	v_add_f64 v[0:1], v[0:1], v[46:47]
	v_add_f64 v[2:3], v[2:3], v[48:49]
	v_lshl_add_u32 v8, v4, 4, 0
	ds_write_b128 v8, v[0:3]
	v_add_f64 v[0:1], v[42:43], v[46:47]
	v_fmac_f64_e32 v[108:109], -0.5, v[0:1]
	v_add_f64 v[0:1], v[44:45], v[48:49]
	v_add_f64 v[4:5], v[44:45], -v[48:49]
	v_fmac_f64_e32 v[110:111], -0.5, v[0:1]
	v_add_f64 v[6:7], v[42:43], -v[46:47]
	v_fma_f64 v[0:1], s[4:5], v[4:5], v[108:109]
	v_fma_f64 v[2:3], s[10:11], v[6:7], v[110:111]
	ds_write_b128 v8, v[0:3] offset:128
	v_add_f64 v[0:1], v[24:25], v[30:31]
	v_fmac_f64_e32 v[108:109], s[10:11], v[4:5]
	v_add_f64 v[2:3], v[120:121], v[24:25]
	v_fmac_f64_e32 v[120:121], -0.5, v[0:1]
	v_add_f64 v[4:5], v[34:35], -v[40:41]
	v_fma_f64 v[0:1], s[4:5], v[4:5], v[120:121]
	v_fmac_f64_e32 v[120:121], s[10:11], v[4:5]
	v_add_f64 v[4:5], v[2:3], v[30:31]
	v_add_f64 v[2:3], v[122:123], v[34:35]
	;; [unrolled: 1-line block ×3, first 2 shown]
	v_fmac_f64_e32 v[110:111], s[4:5], v[6:7]
	v_add_f64 v[6:7], v[2:3], v[40:41]
	v_add_f64 v[2:3], v[34:35], v[40:41]
	;; [unrolled: 1-line block ×4, first 2 shown]
	ds_write_b128 v8, v[108:111] offset:256
	v_fmac_f64_e32 v[122:123], -0.5, v[2:3]
	v_add_f64 v[8:9], v[24:25], -v[30:31]
	v_add_f64 v[42:43], v[10:11], v[38:39]
	v_add_f64 v[10:11], v[26:27], v[38:39]
	v_fma_f64 v[2:3], s[10:11], v[8:9], v[122:123]
	v_fmac_f64_e32 v[122:123], s[4:5], v[8:9]
	v_add_f64 v[8:9], v[18:19], v[28:29]
	v_fmac_f64_e32 v[126:127], -0.5, v[10:11]
	v_add_f64 v[18:19], v[18:19], -v[28:29]
	v_fmac_f64_e32 v[124:125], -0.5, v[8:9]
	v_add_f64 v[24:25], v[26:27], -v[38:39]
	v_fma_f64 v[10:11], s[10:11], v[18:19], v[126:127]
	v_fmac_f64_e32 v[126:127], s[4:5], v[18:19]
	v_add_f64 v[18:19], v[16:17], v[20:21]
	v_fma_f64 v[8:9], s[4:5], v[24:25], v[124:125]
	v_fmac_f64_e32 v[124:125], s[10:11], v[24:25]
	v_add_f64 v[24:25], v[12:13], v[16:17]
	v_fmac_f64_e32 v[12:13], -0.5, v[18:19]
	v_add_f64 v[26:27], v[22:23], -v[36:37]
	v_fma_f64 v[18:19], s[4:5], v[26:27], v[12:13]
	v_fmac_f64_e32 v[12:13], s[10:11], v[26:27]
	v_add_f64 v[26:27], v[14:15], v[22:23]
	v_add_f64 v[22:23], v[22:23], v[36:37]
	v_fmac_f64_e32 v[14:15], -0.5, v[22:23]
	v_add_f64 v[16:17], v[16:17], -v[20:21]
	v_add_f64 v[24:25], v[24:25], v[20:21]
	v_fma_f64 v[20:21], s[10:11], v[16:17], v[14:15]
	v_fmac_f64_e32 v[14:15], s[4:5], v[16:17]
	v_lshrrev_b32_e32 v16, 3, v72
	v_mul_lo_u32 v16, v16, 24
	v_or_b32_e32 v16, v16, v33
	v_lshl_add_u32 v16, v16, 4, 0
	ds_write_b128 v16, v[4:7]
	ds_write_b128 v16, v[0:3] offset:128
	ds_write_b128 v16, v[120:123] offset:256
	v_lshrrev_b32_e32 v0, 3, v76
	v_mul_lo_u32 v0, v0, 24
	v_or_b32_e32 v0, v0, v77
	v_lshl_add_u32 v0, v0, 4, 0
	ds_write_b128 v0, v[40:43]
	ds_write_b128 v0, v[8:11] offset:128
	ds_write_b128 v0, v[124:127] offset:256
	v_lshrrev_b32_e32 v0, 3, v74
	v_mul_lo_u32 v0, v0, 24
	v_or_b32_e32 v0, v0, v91
	v_add_f64 v[26:27], v[26:27], v[36:37]
	v_lshl_add_u32 v0, v0, 4, 0
	ds_write_b128 v0, v[24:27]
	ds_write_b128 v0, v[18:21] offset:128
	ds_write_b128 v0, v[12:15] offset:256
	v_mul_lo_u16_sdwa v0, v114, s12 dst_sel:DWORD dst_unused:UNUSED_PAD src0_sel:BYTE_0 src1_sel:DWORD
	v_lshrrev_b16_e32 v50, 12, v0
	v_mul_lo_u16_e32 v0, 24, v50
	v_sub_u16_e32 v51, v114, v0
	v_mov_b32_e32 v44, 5
	v_lshlrev_b32_sdwa v8, v44, v51 dst_sel:DWORD dst_unused:UNUSED_PAD src0_sel:DWORD src1_sel:BYTE_0
	s_waitcnt lgkmcnt(0)
	; wave barrier
	s_waitcnt lgkmcnt(0)
	global_load_dwordx4 v[4:7], v8, s[8:9] offset:352
	global_load_dwordx4 v[0:3], v8, s[8:9] offset:368
	v_mul_lo_u16_sdwa v8, v75, s12 dst_sel:DWORD dst_unused:UNUSED_PAD src0_sel:BYTE_0 src1_sel:DWORD
	v_lshrrev_b16_e32 v33, 12, v8
	v_mul_lo_u16_e32 v8, 24, v33
	v_sub_u16_e32 v45, v75, v8
	v_lshlrev_b32_sdwa v16, v44, v45 dst_sel:DWORD dst_unused:UNUSED_PAD src0_sel:DWORD src1_sel:BYTE_0
	global_load_dwordx4 v[12:15], v16, s[8:9] offset:352
	global_load_dwordx4 v[8:11], v16, s[8:9] offset:368
	v_mul_lo_u16_sdwa v16, v73, s12 dst_sel:DWORD dst_unused:UNUSED_PAD src0_sel:BYTE_0 src1_sel:DWORD
	v_lshrrev_b16_e32 v46, 12, v16
	v_mul_lo_u16_e32 v16, 24, v46
	v_sub_u16_e32 v47, v73, v16
	v_lshlrev_b32_sdwa v24, v44, v47 dst_sel:DWORD dst_unused:UNUSED_PAD src0_sel:DWORD src1_sel:BYTE_0
	global_load_dwordx4 v[16:19], v24, s[8:9] offset:352
	global_load_dwordx4 v[20:23], v24, s[8:9] offset:368
	v_mul_lo_u16_sdwa v24, v115, s12 dst_sel:DWORD dst_unused:UNUSED_PAD src0_sel:BYTE_0 src1_sel:DWORD
	v_lshrrev_b16_e32 v48, 12, v24
	v_mul_lo_u16_e32 v24, 24, v48
	v_sub_u16_e32 v49, v115, v24
	v_lshlrev_b32_sdwa v34, v44, v49 dst_sel:DWORD dst_unused:UNUSED_PAD src0_sel:DWORD src1_sel:BYTE_0
	s_mov_b32 s12, 0xaaab
	global_load_dwordx4 v[24:27], v34, s[8:9] offset:352
	global_load_dwordx4 v[28:31], v34, s[8:9] offset:368
	v_mul_u32_u24_sdwa v34, v118, s12 dst_sel:DWORD dst_unused:UNUSED_PAD src0_sel:WORD_0 src1_sel:DWORD
	v_lshrrev_b32_e32 v77, 20, v34
	v_mul_lo_u16_e32 v34, 24, v77
	v_sub_u16_e32 v101, v118, v34
	v_lshlrev_b32_e32 v38, 5, v101
	global_load_dwordx4 v[34:37], v38, s[8:9] offset:352
	global_load_dwordx4 v[52:55], v38, s[8:9] offset:368
	v_mul_u32_u24_sdwa v38, v72, s12 dst_sel:DWORD dst_unused:UNUSED_PAD src0_sel:WORD_0 src1_sel:DWORD
	v_lshrrev_b32_e32 v134, 20, v38
	v_mul_lo_u16_e32 v38, 24, v134
	v_sub_u16_e32 v135, v72, v38
	v_lshlrev_b32_e32 v38, 5, v135
	global_load_dwordx4 v[56:59], v38, s[8:9] offset:352
	global_load_dwordx4 v[60:63], v38, s[8:9] offset:368
	v_mul_u32_u24_sdwa v38, v76, s12 dst_sel:DWORD dst_unused:UNUSED_PAD src0_sel:WORD_0 src1_sel:DWORD
	v_lshrrev_b32_e32 v136, 20, v38
	v_mul_lo_u16_e32 v38, 24, v136
	v_sub_u16_e32 v137, v76, v38
	v_lshlrev_b32_e32 v38, 5, v137
	global_load_dwordx4 v[64:67], v38, s[8:9] offset:352
	global_load_dwordx4 v[68:71], v38, s[8:9] offset:368
	v_mul_u32_u24_sdwa v38, v74, s12 dst_sel:DWORD dst_unused:UNUSED_PAD src0_sel:WORD_0 src1_sel:DWORD
	v_lshrrev_b32_e32 v138, 20, v38
	v_mul_lo_u16_e32 v38, 24, v138
	v_sub_u16_e32 v139, v74, v38
	v_lshlrev_b32_e32 v38, 5, v139
	global_load_dwordx4 v[78:81], v38, s[8:9] offset:352
	global_load_dwordx4 v[82:85], v38, s[8:9] offset:368
	ds_read_b128 v[38:41], v144 offset:8064
	ds_read_b128 v[86:89], v144 offset:9072
	;; [unrolled: 1-line block ×3, first 2 shown]
	v_mov_b32_e32 v100, 4
	v_mul_u32_u24_e32 v33, 0x480, v33
	v_lshlrev_b32_sdwa v45, v100, v45 dst_sel:DWORD dst_unused:UNUSED_PAD src0_sel:DWORD src1_sel:BYTE_0
	v_add3_u32 v33, 0, v33, v45
	v_lshlrev_b32_sdwa v45, v100, v47 dst_sel:DWORD dst_unused:UNUSED_PAD src0_sel:DWORD src1_sel:BYTE_0
	s_mov_b32 s12, 0x5040100
	s_waitcnt vmcnt(15) lgkmcnt(2)
	v_mul_f64 v[94:95], v[40:41], v[6:7]
	v_mul_f64 v[6:7], v[38:39], v[6:7]
	v_fmac_f64_e32 v[94:95], v[38:39], v[4:5]
	v_fma_f64 v[102:103], v[40:41], v[4:5], -v[6:7]
	ds_read_b128 v[4:7], v144 offset:17136
	s_waitcnt vmcnt(14) lgkmcnt(1)
	v_mul_f64 v[104:105], v[92:93], v[2:3]
	v_mul_f64 v[2:3], v[90:91], v[2:3]
	v_fmac_f64_e32 v[104:105], v[90:91], v[0:1]
	v_fma_f64 v[90:91], v[92:93], v[0:1], -v[2:3]
	s_waitcnt vmcnt(13)
	v_mul_f64 v[92:93], v[88:89], v[14:15]
	v_mul_f64 v[0:1], v[86:87], v[14:15]
	v_fmac_f64_e32 v[92:93], v[86:87], v[12:13]
	v_fma_f64 v[86:87], v[88:89], v[12:13], -v[0:1]
	ds_read_b128 v[0:3], v144 offset:10080
	s_waitcnt vmcnt(12) lgkmcnt(1)
	v_mul_f64 v[88:89], v[6:7], v[10:11]
	v_fmac_f64_e32 v[88:89], v[4:5], v[8:9]
	v_mul_f64 v[4:5], v[4:5], v[10:11]
	v_fma_f64 v[106:107], v[6:7], v[8:9], -v[4:5]
	ds_read_b128 v[4:7], v144 offset:11088
	s_waitcnt vmcnt(11) lgkmcnt(1)
	v_mul_f64 v[108:109], v[2:3], v[18:19]
	v_fmac_f64_e32 v[108:109], v[0:1], v[16:17]
	v_mul_f64 v[0:1], v[0:1], v[18:19]
	ds_read_b128 v[8:11], v144 offset:18144
	v_fma_f64 v[110:111], v[2:3], v[16:17], -v[0:1]
	ds_read_b128 v[0:3], v144 offset:19152
	s_waitcnt vmcnt(9) lgkmcnt(2)
	v_mul_f64 v[124:125], v[6:7], v[26:27]
	v_fmac_f64_e32 v[124:125], v[4:5], v[24:25]
	v_mul_f64 v[4:5], v[4:5], v[26:27]
	v_fma_f64 v[126:127], v[6:7], v[24:25], -v[4:5]
	s_waitcnt vmcnt(8) lgkmcnt(0)
	v_mul_f64 v[128:129], v[2:3], v[30:31]
	ds_read_b128 v[4:7], v144 offset:12096
	v_fmac_f64_e32 v[128:129], v[0:1], v[28:29]
	v_mul_f64 v[0:1], v[0:1], v[30:31]
	v_fma_f64 v[130:131], v[2:3], v[28:29], -v[0:1]
	ds_read_b128 v[0:3], v144 offset:13104
	v_mul_f64 v[120:121], v[10:11], v[22:23]
	s_waitcnt vmcnt(7) lgkmcnt(1)
	v_mul_f64 v[38:39], v[6:7], v[36:37]
	v_fmac_f64_e32 v[120:121], v[8:9], v[20:21]
	v_mul_f64 v[8:9], v[8:9], v[22:23]
	v_fmac_f64_e32 v[38:39], v[4:5], v[34:35]
	v_mul_f64 v[4:5], v[4:5], v[36:37]
	v_fma_f64 v[122:123], v[10:11], v[20:21], -v[8:9]
	ds_read_b128 v[8:11], v144 offset:20160
	v_fma_f64 v[40:41], v[6:7], v[34:35], -v[4:5]
	ds_read_b128 v[4:7], v144 offset:21168
	s_waitcnt vmcnt(5) lgkmcnt(2)
	v_mul_f64 v[20:21], v[2:3], v[58:59]
	v_fmac_f64_e32 v[20:21], v[0:1], v[56:57]
	v_mul_f64 v[0:1], v[0:1], v[58:59]
	v_fma_f64 v[28:29], v[2:3], v[56:57], -v[0:1]
	ds_read_b128 v[0:3], v144 offset:14112
	s_waitcnt vmcnt(4) lgkmcnt(1)
	v_mul_f64 v[26:27], v[6:7], v[62:63]
	v_fmac_f64_e32 v[26:27], v[4:5], v[60:61]
	v_mul_f64 v[4:5], v[4:5], v[62:63]
	v_mul_f64 v[42:43], v[10:11], v[54:55]
	v_fma_f64 v[36:37], v[6:7], v[60:61], -v[4:5]
	ds_read_b128 v[4:7], v144 offset:15120
	s_waitcnt vmcnt(3) lgkmcnt(1)
	v_mul_f64 v[14:15], v[2:3], v[66:67]
	v_fmac_f64_e32 v[42:43], v[8:9], v[52:53]
	v_mul_f64 v[8:9], v[8:9], v[54:55]
	v_fmac_f64_e32 v[14:15], v[0:1], v[64:65]
	v_mul_f64 v[0:1], v[0:1], v[66:67]
	v_fma_f64 v[132:133], v[10:11], v[52:53], -v[8:9]
	ds_read_b128 v[8:11], v144 offset:22176
	v_fma_f64 v[22:23], v[2:3], v[64:65], -v[0:1]
	ds_read_b128 v[0:3], v144 offset:23184
	ds_read_b128 v[52:55], v144
	ds_read_b128 v[56:59], v144 offset:1008
	s_waitcnt vmcnt(2) lgkmcnt(3)
	v_mul_f64 v[24:25], v[10:11], v[70:71]
	s_waitcnt vmcnt(1)
	v_mul_f64 v[12:13], v[6:7], v[80:81]
	s_waitcnt vmcnt(0) lgkmcnt(2)
	v_mul_f64 v[16:17], v[2:3], v[84:85]
	v_fmac_f64_e32 v[16:17], v[0:1], v[82:83]
	v_mul_f64 v[0:1], v[0:1], v[84:85]
	v_fma_f64 v[30:31], v[2:3], v[82:83], -v[0:1]
	s_waitcnt lgkmcnt(1)
	v_add_f64 v[0:1], v[52:53], v[94:95]
	v_add_f64 v[60:61], v[0:1], v[104:105]
	;; [unrolled: 1-line block ×4, first 2 shown]
	v_mul_u32_u24_e32 v0, 0x480, v50
	v_lshlrev_b32_sdwa v1, v100, v51 dst_sel:DWORD dst_unused:UNUSED_PAD src0_sel:DWORD src1_sel:BYTE_0
	v_fmac_f64_e32 v[24:25], v[8:9], v[68:69]
	v_mul_f64 v[8:9], v[8:9], v[70:71]
	v_fmac_f64_e32 v[12:13], v[4:5], v[78:79]
	v_mul_f64 v[4:5], v[4:5], v[80:81]
	v_add3_u32 v84, 0, v0, v1
	v_fma_f64 v[34:35], v[10:11], v[68:69], -v[8:9]
	v_fma_f64 v[18:19], v[6:7], v[78:79], -v[4:5]
	ds_read_b128 v[64:67], v144 offset:2016
	ds_read_b128 v[68:71], v144 offset:3024
	ds_read_b128 v[78:81], v96
	ds_read_b128 v[8:11], v97
	;; [unrolled: 1-line block ×4, first 2 shown]
	s_waitcnt lgkmcnt(0)
	; wave barrier
	s_waitcnt lgkmcnt(0)
	ds_write_b128 v84, v[60:63]
	v_add_f64 v[50:51], v[94:95], v[104:105]
	v_add_f64 v[60:61], v[102:103], v[90:91]
	v_fmac_f64_e32 v[52:53], -0.5, v[50:51]
	v_add_f64 v[50:51], v[102:103], -v[90:91]
	v_fmac_f64_e32 v[54:55], -0.5, v[60:61]
	v_add_f64 v[82:83], v[94:95], -v[104:105]
	v_fma_f64 v[60:61], s[4:5], v[50:51], v[52:53]
	v_fma_f64 v[62:63], s[10:11], v[82:83], v[54:55]
	v_fmac_f64_e32 v[52:53], s[10:11], v[50:51]
	v_fmac_f64_e32 v[54:55], s[4:5], v[82:83]
	ds_write_b128 v84, v[52:55] offset:768
	v_add_f64 v[50:51], v[56:57], v[92:93]
	v_add_f64 v[52:53], v[58:59], v[86:87]
	;; [unrolled: 1-line block ×4, first 2 shown]
	ds_write_b128 v84, v[60:63] offset:384
	ds_write_b128 v33, v[50:53]
	v_add_f64 v[50:51], v[92:93], v[88:89]
	v_fmac_f64_e32 v[56:57], -0.5, v[50:51]
	v_add_f64 v[50:51], v[86:87], v[106:107]
	v_add_f64 v[54:55], v[86:87], -v[106:107]
	v_fmac_f64_e32 v[58:59], -0.5, v[50:51]
	v_add_f64 v[60:61], v[92:93], -v[88:89]
	v_fma_f64 v[50:51], s[4:5], v[54:55], v[56:57]
	v_fma_f64 v[52:53], s[10:11], v[60:61], v[58:59]
	v_fmac_f64_e32 v[56:57], s[10:11], v[54:55]
	v_fmac_f64_e32 v[58:59], s[4:5], v[60:61]
	ds_write_b128 v33, v[50:53] offset:384
	ds_write_b128 v33, v[56:59] offset:768
	v_add_f64 v[50:51], v[64:65], v[108:109]
	v_add_f64 v[52:53], v[66:67], v[110:111]
	v_mul_u32_u24_e32 v33, 0x480, v46
	v_add_f64 v[50:51], v[50:51], v[120:121]
	v_add_f64 v[52:53], v[52:53], v[122:123]
	v_add3_u32 v33, 0, v33, v45
	ds_write_b128 v33, v[50:53]
	v_add_f64 v[46:47], v[108:109], v[120:121]
	v_add_f64 v[50:51], v[110:111], v[122:123]
	v_fmac_f64_e32 v[64:65], -0.5, v[46:47]
	v_add_f64 v[46:47], v[110:111], -v[122:123]
	v_fmac_f64_e32 v[66:67], -0.5, v[50:51]
	v_add_f64 v[54:55], v[108:109], -v[120:121]
	v_fma_f64 v[50:51], s[4:5], v[46:47], v[64:65]
	v_fma_f64 v[52:53], s[10:11], v[54:55], v[66:67]
	v_fmac_f64_e32 v[64:65], s[10:11], v[46:47]
	v_add_f64 v[46:47], v[68:69], v[124:125]
	ds_write_b128 v33, v[50:53] offset:384
	v_fmac_f64_e32 v[66:67], s[4:5], v[54:55]
	v_add_f64 v[50:51], v[46:47], v[128:129]
	v_add_f64 v[46:47], v[70:71], v[126:127]
	ds_write_b128 v33, v[64:67] offset:768
	v_add_f64 v[52:53], v[46:47], v[130:131]
	v_mul_u32_u24_e32 v33, 0x480, v48
	v_lshlrev_b32_sdwa v45, v100, v49 dst_sel:DWORD dst_unused:UNUSED_PAD src0_sel:DWORD src1_sel:BYTE_0
	v_add_f64 v[46:47], v[124:125], v[128:129]
	v_add3_u32 v33, 0, v33, v45
	v_fmac_f64_e32 v[68:69], -0.5, v[46:47]
	v_add_f64 v[46:47], v[126:127], v[130:131]
	ds_write_b128 v33, v[50:53]
	v_add_f64 v[50:51], v[126:127], -v[130:131]
	v_fmac_f64_e32 v[70:71], -0.5, v[46:47]
	v_add_f64 v[52:53], v[124:125], -v[128:129]
	v_fma_f64 v[46:47], s[4:5], v[50:51], v[68:69]
	v_fma_f64 v[48:49], s[10:11], v[52:53], v[70:71]
	v_fmac_f64_e32 v[68:69], s[10:11], v[50:51]
	v_fmac_f64_e32 v[70:71], s[4:5], v[52:53]
	ds_write_b128 v33, v[46:49] offset:384
	ds_write_b128 v33, v[68:71] offset:768
	v_perm_b32 v33, v134, v77, s12
	v_pk_mul_lo_u16 v33, v33, s13 op_sel_hi:[1,0]
	v_add_f64 v[46:47], v[78:79], v[38:39]
	v_add_f64 v[48:49], v[80:81], v[40:41]
	v_lshlrev_b32_e32 v45, 4, v101
	v_and_b32_e32 v50, 0xff80, v33
	v_add_f64 v[46:47], v[46:47], v[42:43]
	v_add_f64 v[48:49], v[48:49], v[132:133]
	v_add3_u32 v45, 0, v50, v45
	ds_write_b128 v45, v[46:49]
	v_add_f64 v[46:47], v[38:39], v[42:43]
	v_fmac_f64_e32 v[78:79], -0.5, v[46:47]
	v_add_f64 v[46:47], v[40:41], -v[132:133]
	v_add_f64 v[40:41], v[40:41], v[132:133]
	v_fmac_f64_e32 v[80:81], -0.5, v[40:41]
	v_add_f64 v[42:43], v[38:39], -v[42:43]
	v_fma_f64 v[38:39], s[4:5], v[46:47], v[78:79]
	v_fma_f64 v[40:41], s[10:11], v[42:43], v[80:81]
	ds_write_b128 v45, v[38:41] offset:384
	v_fmac_f64_e32 v[80:81], s[4:5], v[42:43]
	v_add_f64 v[38:39], v[8:9], v[20:21]
	v_add_f64 v[40:41], v[10:11], v[28:29]
	v_lshrrev_b32_e32 v33, 16, v33
	v_lshlrev_b32_e32 v42, 4, v135
	v_fmac_f64_e32 v[78:79], s[10:11], v[46:47]
	v_add_f64 v[38:39], v[38:39], v[26:27]
	v_add_f64 v[40:41], v[40:41], v[36:37]
	v_add3_u32 v33, 0, v33, v42
	ds_write_b128 v45, v[78:81] offset:768
	ds_write_b128 v33, v[38:41]
	v_add_f64 v[38:39], v[20:21], v[26:27]
	v_add_f64 v[40:41], v[28:29], -v[36:37]
	v_add_f64 v[28:29], v[28:29], v[36:37]
	v_fmac_f64_e32 v[8:9], -0.5, v[38:39]
	v_fmac_f64_e32 v[10:11], -0.5, v[28:29]
	v_add_f64 v[20:21], v[20:21], -v[26:27]
	v_fma_f64 v[38:39], s[4:5], v[40:41], v[8:9]
	v_fmac_f64_e32 v[8:9], s[10:11], v[40:41]
	v_fma_f64 v[40:41], s[10:11], v[20:21], v[10:11]
	v_fmac_f64_e32 v[10:11], s[4:5], v[20:21]
	v_add_f64 v[20:21], v[14:15], v[24:25]
	v_add_f64 v[26:27], v[4:5], v[14:15]
	v_fmac_f64_e32 v[4:5], -0.5, v[20:21]
	v_add_f64 v[28:29], v[22:23], -v[34:35]
	v_fma_f64 v[20:21], s[4:5], v[28:29], v[4:5]
	v_fmac_f64_e32 v[4:5], s[10:11], v[28:29]
	v_add_f64 v[28:29], v[6:7], v[22:23]
	v_add_f64 v[22:23], v[22:23], v[34:35]
	ds_write_b128 v33, v[38:41] offset:384
	ds_write_b128 v33, v[8:11] offset:768
	v_perm_b32 v8, v138, v136, s12
	v_fmac_f64_e32 v[6:7], -0.5, v[22:23]
	v_add_f64 v[14:15], v[14:15], -v[24:25]
	v_pk_mul_lo_u16 v8, v8, s13 op_sel_hi:[1,0]
	v_fma_f64 v[22:23], s[10:11], v[14:15], v[6:7]
	v_fmac_f64_e32 v[6:7], s[4:5], v[14:15]
	v_add_f64 v[14:15], v[12:13], v[16:17]
	v_and_b32_e32 v9, 0xff80, v8
	v_lshlrev_b32_e32 v10, 4, v137
	v_add_f64 v[26:27], v[26:27], v[24:25]
	v_add_f64 v[28:29], v[28:29], v[34:35]
	;; [unrolled: 1-line block ×3, first 2 shown]
	v_fmac_f64_e32 v[0:1], -0.5, v[14:15]
	v_add_f64 v[34:35], v[18:19], -v[30:31]
	v_add3_u32 v9, 0, v9, v10
	v_fma_f64 v[14:15], s[4:5], v[34:35], v[0:1]
	v_fmac_f64_e32 v[0:1], s[10:11], v[34:35]
	v_add_f64 v[34:35], v[24:25], v[16:17]
	v_add_f64 v[24:25], v[2:3], v[18:19]
	;; [unrolled: 1-line block ×3, first 2 shown]
	ds_write_b128 v9, v[26:29]
	ds_write_b128 v9, v[20:23] offset:384
	ds_write_b128 v9, v[4:7] offset:768
	v_lshrrev_b32_e32 v4, 16, v8
	v_lshlrev_b32_e32 v5, 4, v139
	v_add_f64 v[36:37], v[24:25], v[30:31]
	v_fmac_f64_e32 v[2:3], -0.5, v[18:19]
	v_add_f64 v[12:13], v[12:13], -v[16:17]
	v_add3_u32 v4, 0, v4, v5
	v_mov_b32_e32 v33, v119
	v_add_u32_e32 v8, -9, v114
	v_fma_f64 v[16:17], s[10:11], v[12:13], v[2:3]
	v_fmac_f64_e32 v[2:3], s[4:5], v[12:13]
	ds_write_b128 v4, v[34:37]
	ds_write_b128 v4, v[14:17] offset:384
	ds_write_b128 v4, v[0:3] offset:768
	v_lshl_add_u64 v[0:1], v[32:33], 4, s[8:9]
	v_cndmask_b32_e32 v103, v8, v75, vcc
	s_waitcnt lgkmcnt(0)
	; wave barrier
	s_waitcnt lgkmcnt(0)
	global_load_dwordx4 v[4:7], v[0:1], off offset:1120
	s_nop 0
	global_load_dwordx4 v[0:3], v[0:1], off offset:1136
	v_lshlrev_b32_e32 v8, 1, v103
	v_mov_b32_e32 v9, v119
	v_lshl_add_u64 v[16:17], v[8:9], 4, s[8:9]
	global_load_dwordx4 v[12:15], v[16:17], off offset:1120
	global_load_dwordx4 v[8:11], v[16:17], off offset:1136
	v_mov_b32_e32 v24, 57
	v_mul_lo_u16_sdwa v16, v73, v24 dst_sel:DWORD dst_unused:UNUSED_PAD src0_sel:BYTE_0 src1_sel:DWORD
	v_lshrrev_b16_e32 v106, 12, v16
	v_mul_lo_u16_e32 v16, 0x48, v106
	v_sub_u16_e32 v107, v73, v16
	v_lshlrev_b32_sdwa v25, v44, v107 dst_sel:DWORD dst_unused:UNUSED_PAD src0_sel:DWORD src1_sel:BYTE_0
	v_mul_lo_u16_sdwa v24, v115, v24 dst_sel:DWORD dst_unused:UNUSED_PAD src0_sel:BYTE_0 src1_sel:DWORD
	global_load_dwordx4 v[16:19], v25, s[8:9] offset:1120
	global_load_dwordx4 v[20:23], v25, s[8:9] offset:1136
	v_lshrrev_b16_e32 v110, 12, v24
	v_mul_lo_u16_e32 v24, 0x48, v110
	v_sub_u16_e32 v111, v115, v24
	v_lshlrev_b32_sdwa v32, v44, v111 dst_sel:DWORD dst_unused:UNUSED_PAD src0_sel:DWORD src1_sel:BYTE_0
	s_mov_b32 s12, 0xe38f
	global_load_dwordx4 v[24:27], v32, s[8:9] offset:1120
	global_load_dwordx4 v[28:31], v32, s[8:9] offset:1136
	v_mul_u32_u24_sdwa v32, v118, s12 dst_sel:DWORD dst_unused:UNUSED_PAD src0_sel:WORD_0 src1_sel:DWORD
	v_lshrrev_b32_e32 v101, 22, v32
	v_mul_lo_u16_e32 v32, 0x48, v101
	v_sub_u16_e32 v102, v118, v32
	v_lshlrev_b32_e32 v40, 5, v102
	global_load_dwordx4 v[32:35], v40, s[8:9] offset:1120
	global_load_dwordx4 v[36:39], v40, s[8:9] offset:1136
	v_mul_u32_u24_sdwa v40, v72, s12 dst_sel:DWORD dst_unused:UNUSED_PAD src0_sel:WORD_0 src1_sel:DWORD
	v_lshrrev_b32_e32 v104, 22, v40
	v_mul_lo_u16_e32 v40, 0x48, v104
	v_sub_u16_e32 v105, v72, v40
	v_lshlrev_b32_e32 v40, 5, v105
	;; [unrolled: 7-line block ×4, first 2 shown]
	global_load_dwordx4 v[128:131], v40, s[8:9] offset:1120
	global_load_dwordx4 v[132:135], v40, s[8:9] offset:1136
	ds_read_b128 v[46:49], v144 offset:8064
	ds_read_b128 v[56:59], v144 offset:9072
	;; [unrolled: 1-line block ×3, first 2 shown]
	v_cmp_lt_u32_e32 vcc, 8, v114
	s_waitcnt vmcnt(15) lgkmcnt(2)
	v_mul_f64 v[88:89], v[48:49], v[6:7]
	v_mul_f64 v[6:7], v[46:47], v[6:7]
	v_fmac_f64_e32 v[88:89], v[46:47], v[4:5]
	v_fma_f64 v[90:91], v[48:49], v[4:5], -v[6:7]
	ds_read_b128 v[4:7], v144 offset:17136
	s_waitcnt vmcnt(14) lgkmcnt(1)
	v_mul_f64 v[92:93], v[62:63], v[2:3]
	v_mul_f64 v[2:3], v[60:61], v[2:3]
	v_fmac_f64_e32 v[92:93], v[60:61], v[0:1]
	v_fma_f64 v[94:95], v[62:63], v[0:1], -v[2:3]
	s_waitcnt vmcnt(13)
	v_mul_f64 v[0:1], v[56:57], v[14:15]
	v_fma_f64 v[84:85], v[58:59], v[12:13], -v[0:1]
	ds_read_b128 v[0:3], v144 offset:10080
	s_waitcnt vmcnt(12) lgkmcnt(1)
	v_mul_f64 v[82:83], v[6:7], v[10:11]
	v_fmac_f64_e32 v[82:83], v[4:5], v[8:9]
	v_mul_f64 v[4:5], v[4:5], v[10:11]
	v_fma_f64 v[86:87], v[6:7], v[8:9], -v[4:5]
	ds_read_b128 v[4:7], v144 offset:11088
	s_waitcnt vmcnt(11) lgkmcnt(1)
	v_mul_f64 v[72:73], v[2:3], v[18:19]
	v_fmac_f64_e32 v[72:73], v[0:1], v[16:17]
	v_mul_f64 v[0:1], v[0:1], v[18:19]
	ds_read_b128 v[8:11], v144 offset:18144
	v_fma_f64 v[74:75], v[2:3], v[16:17], -v[0:1]
	ds_read_b128 v[0:3], v144 offset:19152
	s_waitcnt vmcnt(9) lgkmcnt(2)
	v_mul_f64 v[64:65], v[6:7], v[26:27]
	v_fmac_f64_e32 v[64:65], v[4:5], v[24:25]
	v_mul_f64 v[4:5], v[4:5], v[26:27]
	v_fma_f64 v[68:69], v[6:7], v[24:25], -v[4:5]
	s_waitcnt vmcnt(8) lgkmcnt(0)
	v_mul_f64 v[66:67], v[2:3], v[30:31]
	ds_read_b128 v[4:7], v144 offset:12096
	v_fmac_f64_e32 v[66:67], v[0:1], v[28:29]
	v_mul_f64 v[0:1], v[0:1], v[30:31]
	v_fma_f64 v[70:71], v[2:3], v[28:29], -v[0:1]
	ds_read_b128 v[0:3], v144 offset:13104
	v_mul_f64 v[76:77], v[10:11], v[22:23]
	s_waitcnt vmcnt(7) lgkmcnt(1)
	v_mul_f64 v[46:47], v[6:7], v[34:35]
	v_mul_f64 v[80:81], v[58:59], v[14:15]
	v_fmac_f64_e32 v[76:77], v[8:9], v[20:21]
	v_mul_f64 v[8:9], v[8:9], v[22:23]
	v_fmac_f64_e32 v[46:47], v[4:5], v[32:33]
	;; [unrolled: 2-line block ×3, first 2 shown]
	v_fma_f64 v[78:79], v[10:11], v[20:21], -v[8:9]
	ds_read_b128 v[8:11], v144 offset:20160
	v_fma_f64 v[56:57], v[6:7], v[32:33], -v[4:5]
	ds_read_b128 v[4:7], v144 offset:21168
	s_waitcnt vmcnt(5) lgkmcnt(2)
	v_mul_f64 v[40:41], v[2:3], v[44:45]
	v_fmac_f64_e32 v[40:41], v[0:1], v[42:43]
	v_mul_f64 v[0:1], v[0:1], v[44:45]
	v_fma_f64 v[50:51], v[2:3], v[42:43], -v[0:1]
	ds_read_b128 v[0:3], v144 offset:14112
	s_waitcnt vmcnt(4) lgkmcnt(1)
	v_mul_f64 v[48:49], v[6:7], v[54:55]
	v_fmac_f64_e32 v[48:49], v[4:5], v[52:53]
	v_mul_f64 v[4:5], v[4:5], v[54:55]
	v_mul_f64 v[58:59], v[10:11], v[38:39]
	v_fma_f64 v[60:61], v[6:7], v[52:53], -v[4:5]
	ds_read_b128 v[4:7], v144 offset:15120
	s_waitcnt vmcnt(3) lgkmcnt(1)
	v_mul_f64 v[34:35], v[2:3], v[122:123]
	v_fmac_f64_e32 v[58:59], v[8:9], v[36:37]
	v_mul_f64 v[8:9], v[8:9], v[38:39]
	v_fmac_f64_e32 v[34:35], v[0:1], v[120:121]
	v_mul_f64 v[0:1], v[0:1], v[122:123]
	v_fma_f64 v[62:63], v[10:11], v[36:37], -v[8:9]
	ds_read_b128 v[8:11], v144 offset:22176
	v_fma_f64 v[42:43], v[2:3], v[120:121], -v[0:1]
	ds_read_b128 v[0:3], v144 offset:23184
	ds_read_b128 v[28:31], v144
	ds_read_b128 v[24:27], v144 offset:1008
	s_waitcnt vmcnt(2) lgkmcnt(3)
	v_mul_f64 v[44:45], v[10:11], v[126:127]
	s_waitcnt vmcnt(1)
	v_mul_f64 v[32:33], v[6:7], v[130:131]
	s_waitcnt vmcnt(0) lgkmcnt(2)
	v_mul_f64 v[36:37], v[2:3], v[134:135]
	v_fmac_f64_e32 v[36:37], v[0:1], v[132:133]
	v_mul_f64 v[0:1], v[0:1], v[134:135]
	v_fma_f64 v[52:53], v[2:3], v[132:133], -v[0:1]
	s_waitcnt lgkmcnt(1)
	v_add_f64 v[0:1], v[28:29], v[88:89]
	v_fmac_f64_e32 v[44:45], v[8:9], v[124:125]
	v_mul_f64 v[8:9], v[8:9], v[126:127]
	v_fmac_f64_e32 v[32:33], v[4:5], v[128:129]
	v_mul_f64 v[4:5], v[4:5], v[130:131]
	v_add_f64 v[120:121], v[0:1], v[92:93]
	v_add_f64 v[0:1], v[30:31], v[90:91]
	v_fma_f64 v[54:55], v[10:11], v[124:125], -v[8:9]
	v_fma_f64 v[38:39], v[6:7], v[128:129], -v[4:5]
	v_add_f64 v[122:123], v[0:1], v[94:95]
	ds_read_b128 v[20:23], v96
	ds_read_b128 v[16:19], v97
	;; [unrolled: 1-line block ×4, first 2 shown]
	ds_read_b128 v[8:11], v144 offset:2016
	ds_read_b128 v[4:7], v144 offset:3024
	v_add_f64 v[96:97], v[88:89], v[92:93]
	v_fmac_f64_e32 v[28:29], -0.5, v[96:97]
	v_add_f64 v[96:97], v[90:91], -v[94:95]
	v_add_f64 v[90:91], v[90:91], v[94:95]
	v_fmac_f64_e32 v[30:31], -0.5, v[90:91]
	v_add_f64 v[92:93], v[88:89], -v[92:93]
	v_fma_f64 v[88:89], s[4:5], v[96:97], v[28:29]
	v_fma_f64 v[90:91], s[10:11], v[92:93], v[30:31]
	s_waitcnt lgkmcnt(0)
	; wave barrier
	s_waitcnt lgkmcnt(0)
	ds_write_b128 v144, v[88:91] offset:1152
	v_fmac_f64_e32 v[28:29], s[10:11], v[96:97]
	v_fmac_f64_e32 v[30:31], s[4:5], v[92:93]
	v_mov_b32_e32 v88, 0xd80
	ds_write_b128 v144, v[28:31] offset:2304
	v_add_f64 v[28:29], v[24:25], v[80:81]
	v_add_f64 v[30:31], v[26:27], v[84:85]
	v_cndmask_b32_e32 v88, 0, v88, vcc
	v_lshlrev_b32_e32 v89, 4, v103
	v_add_f64 v[28:29], v[28:29], v[82:83]
	v_add_f64 v[30:31], v[30:31], v[86:87]
	v_add3_u32 v90, 0, v88, v89
	ds_write_b128 v144, v[120:123]
	ds_write_b128 v90, v[28:31]
	v_add_f64 v[28:29], v[80:81], v[82:83]
	v_fmac_f64_e32 v[24:25], -0.5, v[28:29]
	v_add_f64 v[28:29], v[84:85], v[86:87]
	v_add_f64 v[88:89], v[84:85], -v[86:87]
	v_fmac_f64_e32 v[26:27], -0.5, v[28:29]
	v_add_f64 v[80:81], v[80:81], -v[82:83]
	v_fma_f64 v[28:29], s[4:5], v[88:89], v[24:25]
	v_fma_f64 v[30:31], s[10:11], v[80:81], v[26:27]
	v_fmac_f64_e32 v[24:25], s[10:11], v[88:89]
	v_fmac_f64_e32 v[26:27], s[4:5], v[80:81]
	ds_write_b128 v90, v[28:31] offset:1152
	ds_write_b128 v90, v[24:27] offset:2304
	v_add_f64 v[24:25], v[8:9], v[72:73]
	v_add_f64 v[26:27], v[10:11], v[74:75]
	v_mul_u32_u24_e32 v28, 0xd80, v106
	v_lshlrev_b32_sdwa v29, v100, v107 dst_sel:DWORD dst_unused:UNUSED_PAD src0_sel:DWORD src1_sel:BYTE_0
	v_add_f64 v[24:25], v[24:25], v[76:77]
	v_add_f64 v[26:27], v[26:27], v[78:79]
	v_add3_u32 v80, 0, v28, v29
	ds_write_b128 v80, v[24:27]
	v_add_f64 v[24:25], v[72:73], v[76:77]
	v_fmac_f64_e32 v[8:9], -0.5, v[24:25]
	v_add_f64 v[24:25], v[74:75], v[78:79]
	v_add_f64 v[28:29], v[74:75], -v[78:79]
	v_fmac_f64_e32 v[10:11], -0.5, v[24:25]
	v_add_f64 v[30:31], v[72:73], -v[76:77]
	v_fma_f64 v[24:25], s[4:5], v[28:29], v[8:9]
	v_fma_f64 v[26:27], s[10:11], v[30:31], v[10:11]
	v_fmac_f64_e32 v[8:9], s[10:11], v[28:29]
	v_fmac_f64_e32 v[10:11], s[4:5], v[30:31]
	ds_write_b128 v80, v[24:27] offset:1152
	ds_write_b128 v80, v[8:11] offset:2304
	v_add_f64 v[8:9], v[4:5], v[64:65]
	v_add_f64 v[10:11], v[6:7], v[68:69]
	v_lshlrev_b32_sdwa v24, v100, v111 dst_sel:DWORD dst_unused:UNUSED_PAD src0_sel:DWORD src1_sel:BYTE_0
	v_mul_u32_u24_e32 v25, 0xd80, v110
	v_add_f64 v[8:9], v[8:9], v[66:67]
	v_add_f64 v[10:11], v[10:11], v[70:71]
	v_add3_u32 v28, 0, v25, v24
	ds_write_b128 v28, v[8:11]
	v_add_f64 v[8:9], v[64:65], v[66:67]
	v_fmac_f64_e32 v[4:5], -0.5, v[8:9]
	v_add_f64 v[8:9], v[68:69], v[70:71]
	v_add_f64 v[24:25], v[68:69], -v[70:71]
	v_fmac_f64_e32 v[6:7], -0.5, v[8:9]
	v_add_f64 v[26:27], v[64:65], -v[66:67]
	v_fma_f64 v[8:9], s[4:5], v[24:25], v[4:5]
	v_fma_f64 v[10:11], s[10:11], v[26:27], v[6:7]
	v_fmac_f64_e32 v[4:5], s[10:11], v[24:25]
	v_fmac_f64_e32 v[6:7], s[4:5], v[26:27]
	ds_write_b128 v28, v[4:7] offset:2304
	v_add_f64 v[4:5], v[20:21], v[46:47]
	ds_write_b128 v28, v[8:11] offset:1152
	v_add_f64 v[28:29], v[4:5], v[58:59]
	v_add_f64 v[4:5], v[22:23], v[56:57]
	;; [unrolled: 1-line block ×4, first 2 shown]
	v_fmac_f64_e32 v[22:23], -0.5, v[4:5]
	v_add_f64 v[4:5], v[46:47], -v[58:59]
	v_add_f64 v[6:7], v[46:47], v[58:59]
	v_fma_f64 v[26:27], s[10:11], v[4:5], v[22:23]
	v_fmac_f64_e32 v[22:23], s[4:5], v[4:5]
	v_add_f64 v[4:5], v[16:17], v[40:41]
	v_fmac_f64_e32 v[20:21], -0.5, v[6:7]
	v_add_f64 v[6:7], v[56:57], -v[62:63]
	v_add_f64 v[56:57], v[4:5], v[48:49]
	v_add_f64 v[4:5], v[18:19], v[50:51]
	;; [unrolled: 1-line block ×4, first 2 shown]
	v_fma_f64 v[24:25], s[4:5], v[6:7], v[20:21]
	v_fmac_f64_e32 v[20:21], s[10:11], v[6:7]
	v_add_f64 v[6:7], v[40:41], v[48:49]
	v_fmac_f64_e32 v[18:19], -0.5, v[4:5]
	v_add_f64 v[4:5], v[40:41], -v[48:49]
	v_fmac_f64_e32 v[16:17], -0.5, v[6:7]
	v_add_f64 v[6:7], v[50:51], -v[60:61]
	v_fma_f64 v[48:49], s[10:11], v[4:5], v[18:19]
	v_fmac_f64_e32 v[18:19], s[4:5], v[4:5]
	v_add_f64 v[4:5], v[12:13], v[34:35]
	v_fma_f64 v[46:47], s[4:5], v[6:7], v[16:17]
	v_fmac_f64_e32 v[16:17], s[10:11], v[6:7]
	v_add_f64 v[6:7], v[34:35], v[44:45]
	v_add_f64 v[60:61], v[4:5], v[44:45]
	;; [unrolled: 1-line block ×3, first 2 shown]
	v_fmac_f64_e32 v[12:13], -0.5, v[6:7]
	v_add_f64 v[6:7], v[42:43], -v[54:55]
	v_add_f64 v[62:63], v[4:5], v[54:55]
	v_add_f64 v[4:5], v[42:43], v[54:55]
	v_fma_f64 v[40:41], s[4:5], v[6:7], v[12:13]
	v_fmac_f64_e32 v[12:13], s[10:11], v[6:7]
	v_fmac_f64_e32 v[14:15], -0.5, v[4:5]
	v_add_f64 v[4:5], v[34:35], -v[44:45]
	v_add_f64 v[6:7], v[32:33], v[36:37]
	v_fma_f64 v[42:43], s[10:11], v[4:5], v[14:15]
	v_fmac_f64_e32 v[14:15], s[4:5], v[4:5]
	v_add_f64 v[4:5], v[0:1], v[32:33]
	v_fmac_f64_e32 v[0:1], -0.5, v[6:7]
	v_add_f64 v[6:7], v[38:39], -v[52:53]
	v_add_f64 v[10:11], v[38:39], v[52:53]
	v_fma_f64 v[8:9], s[4:5], v[6:7], v[0:1]
	v_fmac_f64_e32 v[0:1], s[10:11], v[6:7]
	v_add_f64 v[6:7], v[2:3], v[38:39]
	v_fmac_f64_e32 v[2:3], -0.5, v[10:11]
	v_add_f64 v[32:33], v[32:33], -v[36:37]
	v_fma_f64 v[10:11], s[10:11], v[32:33], v[2:3]
	v_fmac_f64_e32 v[2:3], s[4:5], v[32:33]
	v_mul_u32_u24_e32 v32, 0xd80, v101
	v_lshlrev_b32_e32 v33, 4, v102
	v_add3_u32 v32, 0, v32, v33
	ds_write_b128 v32, v[28:31]
	ds_write_b128 v32, v[24:27] offset:1152
	ds_write_b128 v32, v[20:23] offset:2304
	v_mul_u32_u24_e32 v20, 0xd80, v104
	v_lshlrev_b32_e32 v21, 4, v105
	v_add3_u32 v20, 0, v20, v21
	ds_write_b128 v20, v[56:59]
	ds_write_b128 v20, v[46:49] offset:1152
	ds_write_b128 v20, v[16:19] offset:2304
	v_mul_u32_u24_e32 v16, 0xd80, v108
	v_lshlrev_b32_e32 v17, 4, v109
	v_add3_u32 v16, 0, v16, v17
	v_add_f64 v[4:5], v[4:5], v[36:37]
	v_add_f64 v[6:7], v[6:7], v[52:53]
	ds_write_b128 v16, v[60:63]
	ds_write_b128 v16, v[40:43] offset:1152
	ds_write_b128 v16, v[12:15] offset:2304
	v_lshl_add_u32 v12, v118, 4, 0
	ds_write_b128 v12, v[4:7] offset:20736
	ds_write_b128 v12, v[8:11] offset:21888
	;; [unrolled: 1-line block ×3, first 2 shown]
	s_waitcnt lgkmcnt(0)
	; wave barrier
	s_waitcnt lgkmcnt(0)
	ds_read_b128 v[36:39], v144
	ds_read_b128 v[32:35], v144 offset:1008
	ds_read_b128 v[100:103], v144 offset:6912
	;; [unrolled: 1-line block ×20, first 2 shown]
	v_cmp_gt_u32_e32 vcc, 27, v114
                                        ; implicit-def: $vgpr26_vgpr27
                                        ; implicit-def: $vgpr22_vgpr23
                                        ; implicit-def: $vgpr18_vgpr19
                                        ; implicit-def: $vgpr14_vgpr15
	s_and_saveexec_b64 s[4:5], vcc
	s_cbranch_execz .LBB0_21
; %bb.20:
	ds_read_b128 v[4:7], v144 offset:3024
	ds_read_b128 v[8:11], v144 offset:6480
	;; [unrolled: 1-line block ×7, first 2 shown]
.LBB0_21:
	s_or_b64 exec, exec, s[4:5]
	v_mul_u32_u24_e32 v118, 6, v114
	v_lshlrev_b32_e32 v118, 4, v118
	global_load_dwordx4 v[122:125], v118, s[8:9] offset:3472
	global_load_dwordx4 v[126:129], v118, s[8:9] offset:3456
	;; [unrolled: 1-line block ×4, first 2 shown]
	v_lshl_add_u64 v[136:137], s[8:9], 0, v[118:119]
	s_mov_b64 s[4:5], 0x17a0
	s_mov_b32 s12, 0x37e14327
	s_mov_b32 s14, 0x36b3c0b5
	;; [unrolled: 1-line block ×18, first 2 shown]
	s_waitcnt vmcnt(0) lgkmcnt(12)
	v_mul_f64 v[120:121], v[106:107], v[140:141]
	v_fmac_f64_e32 v[120:121], v[104:105], v[138:139]
	v_mul_f64 v[104:105], v[104:105], v[140:141]
	v_fma_f64 v[106:107], v[106:107], v[138:139], -v[104:105]
	v_mul_f64 v[104:105], v[102:103], v[132:133]
	v_fmac_f64_e32 v[104:105], v[100:101], v[130:131]
	v_mul_f64 v[100:101], v[100:101], v[132:133]
	v_fma_f64 v[102:103], v[102:103], v[130:131], -v[100:101]
	s_waitcnt lgkmcnt(8)
	v_mul_f64 v[100:101], v[110:111], v[128:129]
	v_fmac_f64_e32 v[100:101], v[108:109], v[126:127]
	v_mul_f64 v[108:109], v[108:109], v[128:129]
	v_fma_f64 v[108:109], v[110:111], v[126:127], -v[108:109]
	v_mul_f64 v[110:111], v[98:99], v[124:125]
	v_fmac_f64_e32 v[110:111], v[96:97], v[122:123]
	v_mul_f64 v[96:97], v[96:97], v[124:125]
	v_fma_f64 v[96:97], v[98:99], v[122:123], -v[96:97]
	global_load_dwordx4 v[122:125], v118, s[8:9] offset:3504
	global_load_dwordx4 v[130:133], v118, s[8:9] offset:3488
	s_waitcnt vmcnt(0) lgkmcnt(4)
	v_mul_f64 v[128:129], v[94:95], v[132:133]
	v_fmac_f64_e32 v[128:129], v[92:93], v[130:131]
	v_mul_f64 v[92:93], v[92:93], v[132:133]
	v_mul_f64 v[132:133], v[90:91], v[124:125]
	v_fma_f64 v[130:131], v[94:95], v[130:131], -v[92:93]
	v_fmac_f64_e32 v[132:133], v[88:89], v[122:123]
	v_mul_f64 v[88:89], v[88:89], v[124:125]
	v_lshl_add_u64 v[94:95], v[136:137], 0, s[4:5]
	v_fma_f64 v[134:135], v[90:91], v[122:123], -v[88:89]
	global_load_dwordx4 v[90:93], v[94:95], off offset:3472
	global_load_dwordx4 v[122:125], v[94:95], off offset:3456
	;; [unrolled: 1-line block ×4, first 2 shown]
	s_mov_b64 s[4:5], 0x2f40
	s_waitcnt vmcnt(0)
	v_mul_f64 v[88:89], v[86:87], v[148:149]
	v_fmac_f64_e32 v[88:89], v[84:85], v[146:147]
	v_mul_f64 v[84:85], v[84:85], v[148:149]
	v_fma_f64 v[86:87], v[86:87], v[146:147], -v[84:85]
	v_mul_f64 v[84:85], v[78:79], v[140:141]
	v_fmac_f64_e32 v[84:85], v[76:77], v[138:139]
	v_mul_f64 v[76:77], v[76:77], v[140:141]
	v_fma_f64 v[78:79], v[78:79], v[138:139], -v[76:77]
	;; [unrolled: 4-line block ×4, first 2 shown]
	global_load_dwordx4 v[90:93], v[94:95], off offset:3504
	global_load_dwordx4 v[122:125], v[94:95], off offset:3488
	v_lshl_add_u64 v[146:147], v[136:137], 0, s[4:5]
	s_mov_b32 s4, 0x429ad128
	s_mov_b32 s5, 0xbfebfeb5
	s_waitcnt vmcnt(0) lgkmcnt(2)
	v_mul_f64 v[98:99], v[70:71], v[124:125]
	v_fmac_f64_e32 v[98:99], v[68:69], v[122:123]
	v_mul_f64 v[68:69], v[68:69], v[124:125]
	v_mul_f64 v[124:125], v[66:67], v[92:93]
	v_fmac_f64_e32 v[124:125], v[64:65], v[90:91]
	v_mul_f64 v[64:65], v[64:65], v[92:93]
	v_fma_f64 v[122:123], v[70:71], v[122:123], -v[68:69]
	v_fma_f64 v[126:127], v[66:67], v[90:91], -v[64:65]
	global_load_dwordx4 v[136:139], v[146:147], off offset:3472
	global_load_dwordx4 v[90:93], v[146:147], off offset:3456
	;; [unrolled: 1-line block ×4, first 2 shown]
	s_waitcnt vmcnt(0)
	v_mul_f64 v[64:65], v[62:63], v[68:69]
	v_fmac_f64_e32 v[64:65], v[60:61], v[66:67]
	v_mul_f64 v[60:61], v[60:61], v[68:69]
	v_mul_f64 v[68:69], v[54:55], v[92:93]
	v_fmac_f64_e32 v[68:69], v[52:53], v[90:91]
	v_mul_f64 v[52:53], v[52:53], v[92:93]
	;; [unrolled: 3-line block ×3, first 2 shown]
	v_fma_f64 v[90:91], v[54:55], v[90:91], -v[52:53]
	v_fma_f64 v[94:95], v[50:51], v[136:137], -v[48:49]
	global_load_dwordx4 v[48:51], v[146:147], off offset:3504
	global_load_dwordx4 v[52:55], v[146:147], off offset:3488
	v_fma_f64 v[70:71], v[62:63], v[66:67], -v[60:61]
	v_mul_f64 v[66:67], v[58:59], v[142:143]
	v_fmac_f64_e32 v[66:67], v[56:57], v[140:141]
	v_mul_f64 v[56:57], v[56:57], v[142:143]
	v_fma_f64 v[74:75], v[58:59], v[140:141], -v[56:57]
	v_add_f64 v[56:57], v[100:101], v[110:111]
	v_add_f64 v[58:59], v[108:109], v[96:97]
	v_add_f64 v[62:63], v[96:97], -v[108:109]
	v_add_f64 v[60:61], v[110:111], -v[100:101]
	s_waitcnt lgkmcnt(0)
	; wave barrier
	s_waitcnt vmcnt(1) lgkmcnt(0)
	v_mul_f64 v[140:141], v[42:43], v[50:51]
	v_fmac_f64_e32 v[140:141], v[40:41], v[48:49]
	v_mul_f64 v[40:41], v[40:41], v[50:51]
	v_fma_f64 v[142:143], v[42:43], v[48:49], -v[40:41]
	v_add_f64 v[40:41], v[120:121], v[132:133]
	v_add_f64 v[48:49], v[104:105], v[128:129]
	s_waitcnt vmcnt(0)
	v_mul_f64 v[136:137], v[46:47], v[54:55]
	v_add_f64 v[42:43], v[106:107], v[134:135]
	v_add_f64 v[50:51], v[102:103], v[130:131]
	v_add_f64 v[96:97], v[48:49], v[40:41]
	v_fmac_f64_e32 v[136:137], v[44:45], v[52:53]
	v_mul_f64 v[44:45], v[44:45], v[54:55]
	v_add_f64 v[54:55], v[102:103], -v[130:131]
	v_add_f64 v[100:101], v[50:51], v[42:43]
	v_add_f64 v[102:103], v[48:49], -v[40:41]
	v_add_f64 v[40:41], v[40:41], -v[56:57]
	;; [unrolled: 1-line block ×3, first 2 shown]
	v_add_f64 v[56:57], v[56:57], v[96:97]
	v_fma_f64 v[138:139], v[46:47], v[52:53], -v[44:45]
	v_add_f64 v[46:47], v[106:107], -v[134:135]
	v_add_f64 v[52:53], v[104:105], -v[128:129]
	;; [unrolled: 1-line block ×5, first 2 shown]
	v_add_f64 v[58:59], v[58:59], v[100:101]
	v_add_f64 v[36:37], v[36:37], v[56:57]
	v_add_f64 v[44:45], v[120:121], -v[132:133]
	v_add_f64 v[106:107], v[60:61], v[52:53]
	v_add_f64 v[108:109], v[62:63], v[54:55]
	v_add_f64 v[110:111], v[60:61], -v[52:53]
	v_add_f64 v[120:121], v[62:63], -v[54:55]
	;; [unrolled: 1-line block ×3, first 2 shown]
	v_add_f64 v[38:39], v[38:39], v[58:59]
	v_mov_b64_e32 v[128:129], v[36:37]
	v_add_f64 v[60:61], v[44:45], -v[60:61]
	v_add_f64 v[62:63], v[46:47], -v[62:63]
	;; [unrolled: 1-line block ×3, first 2 shown]
	v_add_f64 v[44:45], v[106:107], v[44:45]
	v_add_f64 v[46:47], v[108:109], v[46:47]
	v_mul_f64 v[40:41], v[40:41], s[12:13]
	v_mul_f64 v[96:97], v[48:49], s[14:15]
	;; [unrolled: 1-line block ×6, first 2 shown]
	v_fmac_f64_e32 v[128:129], s[16:17], v[56:57]
	v_mov_b64_e32 v[56:57], v[38:39]
	v_mul_f64 v[42:43], v[42:43], s[12:13]
	v_mul_f64 v[110:111], v[52:53], s[4:5]
	v_fmac_f64_e32 v[56:57], s[16:17], v[58:59]
	v_fma_f64 v[58:59], v[102:103], s[10:11], -v[96:97]
	v_fma_f64 v[96:97], v[104:105], s[10:11], -v[100:101]
	;; [unrolled: 1-line block ×5, first 2 shown]
	v_fmac_f64_e32 v[108:109], s[26:27], v[62:63]
	v_fma_f64 v[62:63], v[62:63], s[24:25], -v[120:121]
	v_fmac_f64_e32 v[40:41], s[14:15], v[48:49]
	v_fma_f64 v[48:49], v[104:105], s[22:23], -v[42:43]
	v_fmac_f64_e32 v[42:43], s[14:15], v[50:51]
	v_fmac_f64_e32 v[106:107], s[26:27], v[60:61]
	v_fma_f64 v[60:61], v[60:61], s[24:25], -v[110:111]
	v_add_f64 v[54:55], v[58:59], v[128:129]
	v_add_f64 v[58:59], v[96:97], v[56:57]
	v_add_f64 v[96:97], v[100:101], v[128:129]
	v_fmac_f64_e32 v[102:103], s[20:21], v[44:45]
	v_fmac_f64_e32 v[52:53], s[20:21], v[46:47]
	;; [unrolled: 1-line block ×3, first 2 shown]
	v_add_f64 v[104:105], v[40:41], v[128:129]
	v_add_f64 v[110:111], v[42:43], v[56:57]
	;; [unrolled: 1-line block ×3, first 2 shown]
	v_fmac_f64_e32 v[106:107], s[20:21], v[44:45]
	v_fmac_f64_e32 v[108:109], s[20:21], v[46:47]
	;; [unrolled: 1-line block ×3, first 2 shown]
	v_add_f64 v[44:45], v[62:63], v[96:97]
	v_add_f64 v[48:49], v[54:55], -v[52:53]
	v_add_f64 v[50:51], v[102:103], v[58:59]
	v_add_f64 v[52:53], v[52:53], v[54:55]
	v_add_f64 v[54:55], v[58:59], -v[102:103]
	v_add_f64 v[56:57], v[96:97], -v[62:63]
	v_add_f64 v[96:97], v[88:89], v[124:125]
	v_add_f64 v[102:103], v[84:85], v[98:99]
	;; [unrolled: 1-line block ×3, first 2 shown]
	v_add_f64 v[42:43], v[110:111], -v[106:107]
	v_add_f64 v[46:47], v[100:101], -v[60:61]
	v_add_f64 v[58:59], v[60:61], v[100:101]
	v_add_f64 v[60:61], v[104:105], -v[108:109]
	v_add_f64 v[62:63], v[106:107], v[110:111]
	v_add_f64 v[100:101], v[86:87], v[126:127]
	;; [unrolled: 1-line block ×3, first 2 shown]
	v_add_f64 v[84:85], v[84:85], -v[98:99]
	v_add_f64 v[98:99], v[76:77], v[82:83]
	v_add_f64 v[106:107], v[80:81], v[72:73]
	v_add_f64 v[72:73], v[72:73], -v[80:81]
	v_add_f64 v[80:81], v[102:103], v[96:97]
	v_add_f64 v[76:77], v[82:83], -v[76:77]
	v_add_f64 v[82:83], v[104:105], v[100:101]
	v_add_f64 v[80:81], v[98:99], v[80:81]
	v_add_f64 v[86:87], v[86:87], -v[126:127]
	v_add_f64 v[78:79], v[78:79], -v[122:123]
	v_add_f64 v[82:83], v[106:107], v[82:83]
	v_add_f64 v[32:33], v[32:33], v[80:81]
	v_add_f64 v[88:89], v[88:89], -v[124:125]
	v_add_f64 v[108:109], v[102:103], -v[96:97]
	;; [unrolled: 1-line block ×7, first 2 shown]
	v_add_f64 v[122:123], v[72:73], v[78:79]
	v_add_f64 v[126:127], v[72:73], -v[78:79]
	v_add_f64 v[78:79], v[78:79], -v[86:87]
	v_add_f64 v[34:35], v[34:35], v[82:83]
	v_mov_b64_e32 v[128:129], v[32:33]
	v_add_f64 v[120:121], v[76:77], v[84:85]
	v_add_f64 v[124:125], v[76:77], -v[84:85]
	v_add_f64 v[72:73], v[86:87], -v[72:73]
	;; [unrolled: 1-line block ×3, first 2 shown]
	v_add_f64 v[86:87], v[122:123], v[86:87]
	v_mul_f64 v[96:97], v[96:97], s[12:13]
	v_mul_f64 v[98:99], v[100:101], s[12:13]
	;; [unrolled: 1-line block ×6, first 2 shown]
	v_fmac_f64_e32 v[128:129], s[16:17], v[80:81]
	v_mov_b64_e32 v[80:81], v[34:35]
	v_add_f64 v[76:77], v[88:89], -v[76:77]
	v_add_f64 v[88:89], v[120:121], v[88:89]
	v_mul_f64 v[120:121], v[124:125], s[18:19]
	v_mul_f64 v[124:125], v[84:85], s[4:5]
	v_fmac_f64_e32 v[80:81], s[16:17], v[82:83]
	v_fma_f64 v[82:83], v[108:109], s[10:11], -v[100:101]
	v_fma_f64 v[100:101], v[110:111], s[10:11], -v[106:107]
	v_fma_f64 v[106:107], v[108:109], s[22:23], -v[96:97]
	v_fmac_f64_e32 v[96:97], s[14:15], v[102:103]
	v_fma_f64 v[102:103], v[110:111], s[22:23], -v[98:99]
	v_fmac_f64_e32 v[98:99], s[14:15], v[104:105]
	v_fma_f64 v[108:109], v[78:79], s[4:5], -v[122:123]
	;; [unrolled: 2-line block ×3, first 2 shown]
	v_fma_f64 v[104:105], v[84:85], s[4:5], -v[120:121]
	v_fmac_f64_e32 v[120:121], s[26:27], v[76:77]
	v_fma_f64 v[110:111], v[76:77], s[24:25], -v[124:125]
	v_add_f64 v[124:125], v[96:97], v[128:129]
	v_add_f64 v[126:127], v[98:99], v[80:81]
	;; [unrolled: 1-line block ×5, first 2 shown]
	v_fmac_f64_e32 v[108:109], s[20:21], v[86:87]
	v_fmac_f64_e32 v[72:73], s[20:21], v[86:87]
	v_add_f64 v[102:103], v[102:103], v[80:81]
	v_fmac_f64_e32 v[120:121], s[20:21], v[88:89]
	v_fmac_f64_e32 v[110:111], s[20:21], v[88:89]
	v_add_f64 v[80:81], v[72:73], v[100:101]
	v_add_f64 v[84:85], v[96:97], -v[108:109]
	v_add_f64 v[96:97], v[108:109], v[96:97]
	v_add_f64 v[100:101], v[100:101], -v[72:73]
	v_add_f64 v[72:73], v[64:65], v[140:141]
	v_add_f64 v[108:109], v[66:67], v[136:137]
	v_fmac_f64_e32 v[122:123], s[20:21], v[86:87]
	v_fmac_f64_e32 v[104:105], s[20:21], v[88:89]
	v_add_f64 v[78:79], v[126:127], -v[120:121]
	v_add_f64 v[82:83], v[102:103], -v[110:111]
	v_add_f64 v[102:103], v[110:111], v[102:103]
	v_add_f64 v[106:107], v[120:121], v[126:127]
	;; [unrolled: 1-line block ×5, first 2 shown]
	v_add_f64 v[68:69], v[92:93], -v[68:69]
	v_add_f64 v[92:93], v[108:109], v[72:73]
	v_add_f64 v[76:77], v[122:123], v[124:125]
	;; [unrolled: 1-line block ×3, first 2 shown]
	v_add_f64 v[98:99], v[98:99], -v[104:105]
	v_add_f64 v[104:105], v[124:125], -v[122:123]
	v_add_f64 v[122:123], v[90:91], v[94:95]
	v_add_f64 v[90:91], v[94:95], -v[90:91]
	v_add_f64 v[94:95], v[110:111], v[88:89]
	v_add_f64 v[92:93], v[120:121], v[92:93]
	v_add_f64 v[64:65], v[64:65], -v[140:141]
	v_add_f64 v[70:71], v[70:71], -v[142:143]
	;; [unrolled: 1-line block ×4, first 2 shown]
	v_add_f64 v[94:95], v[122:123], v[94:95]
	v_add_f64 v[28:29], v[28:29], v[92:93]
	v_add_f64 v[124:125], v[108:109], -v[72:73]
	v_add_f64 v[126:127], v[110:111], -v[88:89]
	;; [unrolled: 1-line block ×6, first 2 shown]
	v_add_f64 v[128:129], v[68:69], v[66:67]
	v_add_f64 v[130:131], v[90:91], v[74:75]
	v_add_f64 v[132:133], v[68:69], -v[66:67]
	v_add_f64 v[134:135], v[90:91], -v[74:75]
	;; [unrolled: 1-line block ×4, first 2 shown]
	v_add_f64 v[30:31], v[30:31], v[94:95]
	v_mov_b64_e32 v[136:137], v[28:29]
	v_add_f64 v[68:69], v[64:65], -v[68:69]
	v_add_f64 v[90:91], v[70:71], -v[90:91]
	v_add_f64 v[64:65], v[128:129], v[64:65]
	v_add_f64 v[70:71], v[130:131], v[70:71]
	v_mul_f64 v[72:73], v[72:73], s[12:13]
	v_mul_f64 v[88:89], v[88:89], s[12:13]
	;; [unrolled: 1-line block ×8, first 2 shown]
	v_fmac_f64_e32 v[136:137], s[16:17], v[92:93]
	v_mov_b64_e32 v[92:93], v[30:31]
	v_fmac_f64_e32 v[92:93], s[16:17], v[94:95]
	v_fma_f64 v[94:95], v[124:125], s[10:11], -v[120:121]
	v_fma_f64 v[120:121], v[126:127], s[10:11], -v[122:123]
	;; [unrolled: 1-line block ×3, first 2 shown]
	v_fmac_f64_e32 v[72:73], s[14:15], v[108:109]
	v_fma_f64 v[108:109], v[126:127], s[22:23], -v[88:89]
	v_fmac_f64_e32 v[88:89], s[14:15], v[110:111]
	v_fma_f64 v[110:111], v[66:67], s[4:5], -v[128:129]
	;; [unrolled: 2-line block ×4, first 2 shown]
	v_fma_f64 v[132:133], v[90:91], s[24:25], -v[134:135]
	v_add_f64 v[134:135], v[72:73], v[136:137]
	v_add_f64 v[138:139], v[88:89], v[92:93]
	;; [unrolled: 1-line block ×6, first 2 shown]
	v_fmac_f64_e32 v[128:129], s[20:21], v[64:65]
	v_fmac_f64_e32 v[130:131], s[20:21], v[70:71]
	;; [unrolled: 1-line block ×6, first 2 shown]
	v_add_f64 v[64:65], v[130:131], v[134:135]
	v_add_f64 v[66:67], v[138:139], -v[128:129]
	v_add_f64 v[68:69], v[132:133], v[94:95]
	v_add_f64 v[70:71], v[108:109], -v[126:127]
	v_add_f64 v[72:73], v[88:89], -v[124:125]
	v_add_f64 v[74:75], v[110:111], v[90:91]
	v_add_f64 v[88:89], v[124:125], v[88:89]
	v_add_f64 v[90:91], v[90:91], -v[110:111]
	v_add_f64 v[92:93], v[94:95], -v[132:133]
	v_add_f64 v[94:95], v[126:127], v[108:109]
	v_add_f64 v[108:109], v[134:135], -v[130:131]
	v_add_f64 v[110:111], v[128:129], v[138:139]
	ds_write_b128 v144, v[36:39]
	ds_write_b128 v144, v[40:43] offset:3456
	ds_write_b128 v144, v[44:47] offset:6912
	;; [unrolled: 1-line block ×20, first 2 shown]
	s_and_saveexec_b64 s[28:29], vcc
	s_cbranch_execz .LBB0_23
; %bb.22:
	v_subrev_u32_e32 v28, 27, v114
	v_cndmask_b32_e32 v28, v28, v115, vcc
	v_mul_i32_i24_e32 v118, 6, v28
	v_lshl_add_u64 v[52:53], v[118:119], 4, s[8:9]
	global_load_dwordx4 v[28:31], v[52:53], off offset:3424
	global_load_dwordx4 v[32:35], v[52:53], off offset:3504
	;; [unrolled: 1-line block ×6, first 2 shown]
	s_waitcnt vmcnt(5)
	v_mul_f64 v[52:53], v[10:11], v[30:31]
	s_waitcnt vmcnt(4)
	v_mul_f64 v[54:55], v[26:27], v[34:35]
	;; [unrolled: 2-line block ×6, first 2 shown]
	v_mul_f64 v[34:35], v[24:25], v[34:35]
	v_mul_f64 v[30:31], v[8:9], v[30:31]
	;; [unrolled: 1-line block ×6, first 2 shown]
	v_fmac_f64_e32 v[52:53], v[8:9], v[28:29]
	v_fmac_f64_e32 v[54:55], v[24:25], v[32:33]
	v_fmac_f64_e32 v[60:61], v[0:1], v[44:45]
	v_fmac_f64_e32 v[62:63], v[20:21], v[48:49]
	v_fmac_f64_e32 v[56:57], v[16:17], v[36:37]
	v_fmac_f64_e32 v[58:59], v[12:13], v[40:41]
	v_fma_f64 v[0:1], v[26:27], v[32:33], -v[34:35]
	v_fma_f64 v[8:9], v[10:11], v[28:29], -v[30:31]
	;; [unrolled: 1-line block ×6, first 2 shown]
	v_add_f64 v[28:29], v[52:53], v[54:55]
	v_add_f64 v[30:31], v[60:61], v[62:63]
	v_add_f64 v[16:17], v[52:53], -v[54:55]
	v_add_f64 v[18:19], v[56:57], -v[58:59]
	;; [unrolled: 1-line block ×3, first 2 shown]
	v_add_f64 v[22:23], v[8:9], v[0:1]
	v_add_f64 v[24:25], v[2:3], v[10:11]
	v_add_f64 v[26:27], v[12:13], v[14:15]
	v_add_f64 v[32:33], v[58:59], v[56:57]
	v_add_f64 v[8:9], v[8:9], -v[0:1]
	v_add_f64 v[0:1], v[14:15], -v[12:13]
	;; [unrolled: 1-line block ×3, first 2 shown]
	v_add_f64 v[38:39], v[30:31], v[28:29]
	v_add_f64 v[10:11], v[16:17], -v[18:19]
	v_add_f64 v[2:3], v[18:19], -v[20:21]
	v_add_f64 v[14:15], v[18:19], v[20:21]
	v_add_f64 v[18:19], v[24:25], v[22:23]
	v_add_f64 v[34:35], v[22:23], -v[26:27]
	v_add_f64 v[36:37], v[26:27], -v[24:25]
	v_add_f64 v[40:41], v[28:29], -v[32:33]
	v_add_f64 v[42:43], v[32:33], -v[30:31]
	v_add_f64 v[44:45], v[8:9], -v[0:1]
	v_add_f64 v[46:47], v[0:1], -v[12:13]
	v_add_f64 v[0:1], v[0:1], v[12:13]
	v_add_f64 v[20:21], v[20:21], -v[16:17]
	v_add_f64 v[22:23], v[24:25], -v[22:23]
	;; [unrolled: 1-line block ×3, first 2 shown]
	v_add_f64 v[30:31], v[32:33], v[38:39]
	v_add_f64 v[14:15], v[14:15], v[16:17]
	v_add_f64 v[16:17], v[26:27], v[18:19]
	v_mul_f64 v[32:33], v[40:41], s[12:13]
	v_mul_f64 v[38:39], v[46:47], s[18:19]
	v_add_f64 v[40:41], v[0:1], v[8:9]
	v_mul_f64 v[46:47], v[20:21], s[4:5]
	v_add_f64 v[0:1], v[4:5], v[30:31]
	v_mul_f64 v[28:29], v[2:3], s[18:19]
	v_mul_f64 v[18:19], v[34:35], s[12:13]
	;; [unrolled: 1-line block ×3, first 2 shown]
	v_add_f64 v[2:3], v[6:7], v[16:17]
	v_fma_f64 v[4:5], s[14:15], v[42:43], v[32:33]
	v_fma_f64 v[42:43], v[10:11], s[24:25], -v[46:47]
	v_mov_b64_e32 v[46:47], v[0:1]
	v_add_f64 v[12:13], v[12:13], -v[8:9]
	v_mul_f64 v[26:27], v[36:37], s[14:15]
	v_fma_f64 v[48:49], s[26:27], v[10:11], v[28:29]
	v_fma_f64 v[6:7], s[14:15], v[36:37], v[18:19]
	v_fma_f64 v[10:11], v[22:23], s[22:23], -v[18:19]
	v_fma_f64 v[18:19], v[24:25], s[22:23], -v[32:33]
	v_mov_b64_e32 v[32:33], v[2:3]
	v_fmac_f64_e32 v[46:47], s[16:17], v[30:31]
	v_mul_f64 v[8:9], v[12:13], s[4:5]
	v_fma_f64 v[36:37], s[26:27], v[44:45], v[38:39]
	v_fmac_f64_e32 v[32:33], s[16:17], v[16:17]
	v_add_f64 v[54:55], v[18:19], v[46:47]
	v_fma_f64 v[44:45], v[44:45], s[24:25], -v[8:9]
	v_fma_f64 v[16:17], v[22:23], s[10:11], -v[26:27]
	;; [unrolled: 1-line block ×5, first 2 shown]
	v_fmac_f64_e32 v[48:49], s[20:21], v[14:15]
	v_fmac_f64_e32 v[36:37], s[20:21], v[40:41]
	v_fmac_f64_e32 v[42:43], s[20:21], v[14:15]
	v_add_f64 v[30:31], v[6:7], v[32:33]
	v_add_f64 v[50:51], v[4:5], v[46:47]
	;; [unrolled: 1-line block ×3, first 2 shown]
	v_fmac_f64_e32 v[44:45], s[20:21], v[40:41]
	v_add_f64 v[16:17], v[16:17], v[32:33]
	v_fmac_f64_e32 v[18:19], s[20:21], v[14:15]
	v_add_f64 v[20:21], v[20:21], v[46:47]
	;; [unrolled: 2-line block ×3, first 2 shown]
	v_add_f64 v[4:5], v[50:51], -v[36:37]
	v_add_f64 v[10:11], v[42:43], v[52:53]
	v_add_f64 v[8:9], v[54:55], -v[44:45]
	v_add_f64 v[14:15], v[16:17], -v[18:19]
	v_add_f64 v[12:13], v[22:23], v[20:21]
	v_add_f64 v[18:19], v[18:19], v[16:17]
	v_add_f64 v[16:17], v[20:21], -v[22:23]
	v_add_f64 v[22:23], v[52:53], -v[42:43]
	v_add_f64 v[20:21], v[44:45], v[54:55]
	v_add_f64 v[26:27], v[30:31], -v[48:49]
	v_add_f64 v[24:25], v[36:37], v[50:51]
	ds_write_b128 v144, v[0:3] offset:3024
	ds_write_b128 v144, v[24:27] offset:6480
	ds_write_b128 v144, v[20:23] offset:9936
	ds_write_b128 v144, v[16:19] offset:13392
	ds_write_b128 v144, v[12:15] offset:16848
	ds_write_b128 v144, v[8:11] offset:20304
	ds_write_b128 v144, v[4:7] offset:23760
.LBB0_23:
	s_or_b64 exec, exec, s[28:29]
	s_waitcnt lgkmcnt(0)
	; wave barrier
	s_waitcnt lgkmcnt(0)
	s_and_saveexec_b64 s[4:5], s[0:1]
	s_cbranch_execz .LBB0_25
; %bb.24:
	v_mul_lo_u32 v0, s3, v116
	v_mul_lo_u32 v1, s2, v117
	v_mad_u64_u32 v[4:5], s[0:1], s2, v116, 0
	v_lshl_add_u32 v12, v114, 4, 0
	v_add3_u32 v5, v5, v1, v0
	ds_read_b128 v[0:3], v12
	v_lshl_add_u64 v[4:5], v[4:5], 4, s[6:7]
	v_lshl_add_u64 v[8:9], v[112:113], 4, v[4:5]
	ds_read_b128 v[4:7], v12 offset:1008
	v_mov_b32_e32 v115, 0
	v_lshl_add_u64 v[10:11], v[114:115], 4, v[8:9]
	s_waitcnt lgkmcnt(1)
	global_store_dwordx4 v[10:11], v[0:3], off
	s_nop 1
	v_add_u32_e32 v0, 63, v114
	v_mov_b32_e32 v1, v115
	v_lshl_add_u64 v[0:1], v[0:1], 4, v[8:9]
	s_waitcnt lgkmcnt(0)
	global_store_dwordx4 v[0:1], v[4:7], off
	ds_read_b128 v[0:3], v12 offset:2016
	s_nop 0
	v_add_u32_e32 v4, 0x7e, v114
	v_mov_b32_e32 v5, v115
	v_lshl_add_u64 v[10:11], v[4:5], 4, v[8:9]
	ds_read_b128 v[4:7], v12 offset:3024
	s_waitcnt lgkmcnt(1)
	global_store_dwordx4 v[10:11], v[0:3], off
	s_nop 1
	v_add_u32_e32 v0, 0xbd, v114
	v_mov_b32_e32 v1, v115
	v_lshl_add_u64 v[0:1], v[0:1], 4, v[8:9]
	s_waitcnt lgkmcnt(0)
	global_store_dwordx4 v[0:1], v[4:7], off
	ds_read_b128 v[0:3], v12 offset:4032
	s_nop 0
	v_add_u32_e32 v4, 0xfc, v114
	v_mov_b32_e32 v5, v115
	v_lshl_add_u64 v[10:11], v[4:5], 4, v[8:9]
	ds_read_b128 v[4:7], v12 offset:5040
	;; [unrolled: 14-line block ×10, first 2 shown]
	s_waitcnt lgkmcnt(1)
	global_store_dwordx4 v[10:11], v[0:3], off
	v_add_u32_e32 v10, 0x56a, v114
	v_mov_b32_e32 v11, v115
	v_add_u32_e32 v0, 0x52b, v114
	v_mov_b32_e32 v1, v115
	v_lshl_add_u64 v[0:1], v[0:1], 4, v[8:9]
	s_waitcnt lgkmcnt(0)
	global_store_dwordx4 v[0:1], v[4:7], off
	ds_read_b128 v[0:3], v12 offset:22176
	ds_read_b128 v[4:7], v12 offset:23184
	v_lshl_add_u64 v[10:11], v[10:11], 4, v[8:9]
	v_add_u32_e32 v114, 0x5a9, v114
	s_waitcnt lgkmcnt(1)
	global_store_dwordx4 v[10:11], v[0:3], off
	s_nop 1
	v_lshl_add_u64 v[0:1], v[114:115], 4, v[8:9]
	s_waitcnt lgkmcnt(0)
	global_store_dwordx4 v[0:1], v[4:7], off
.LBB0_25:
	s_endpgm
	.section	.rodata,"a",@progbits
	.p2align	6, 0x0
	.amdhsa_kernel fft_rtc_back_len1512_factors_2_2_2_3_3_3_7_wgs_63_tpt_63_halfLds_dp_op_CI_CI_unitstride_sbrr_C2R_dirReg
		.amdhsa_group_segment_fixed_size 0
		.amdhsa_private_segment_fixed_size 0
		.amdhsa_kernarg_size 104
		.amdhsa_user_sgpr_count 2
		.amdhsa_user_sgpr_dispatch_ptr 0
		.amdhsa_user_sgpr_queue_ptr 0
		.amdhsa_user_sgpr_kernarg_segment_ptr 1
		.amdhsa_user_sgpr_dispatch_id 0
		.amdhsa_user_sgpr_kernarg_preload_length 0
		.amdhsa_user_sgpr_kernarg_preload_offset 0
		.amdhsa_user_sgpr_private_segment_size 0
		.amdhsa_uses_dynamic_stack 0
		.amdhsa_enable_private_segment 0
		.amdhsa_system_sgpr_workgroup_id_x 1
		.amdhsa_system_sgpr_workgroup_id_y 0
		.amdhsa_system_sgpr_workgroup_id_z 0
		.amdhsa_system_sgpr_workgroup_info 0
		.amdhsa_system_vgpr_workitem_id 0
		.amdhsa_next_free_vgpr 150
		.amdhsa_next_free_sgpr 30
		.amdhsa_accum_offset 152
		.amdhsa_reserve_vcc 1
		.amdhsa_float_round_mode_32 0
		.amdhsa_float_round_mode_16_64 0
		.amdhsa_float_denorm_mode_32 3
		.amdhsa_float_denorm_mode_16_64 3
		.amdhsa_dx10_clamp 1
		.amdhsa_ieee_mode 1
		.amdhsa_fp16_overflow 0
		.amdhsa_tg_split 0
		.amdhsa_exception_fp_ieee_invalid_op 0
		.amdhsa_exception_fp_denorm_src 0
		.amdhsa_exception_fp_ieee_div_zero 0
		.amdhsa_exception_fp_ieee_overflow 0
		.amdhsa_exception_fp_ieee_underflow 0
		.amdhsa_exception_fp_ieee_inexact 0
		.amdhsa_exception_int_div_zero 0
	.end_amdhsa_kernel
	.text
.Lfunc_end0:
	.size	fft_rtc_back_len1512_factors_2_2_2_3_3_3_7_wgs_63_tpt_63_halfLds_dp_op_CI_CI_unitstride_sbrr_C2R_dirReg, .Lfunc_end0-fft_rtc_back_len1512_factors_2_2_2_3_3_3_7_wgs_63_tpt_63_halfLds_dp_op_CI_CI_unitstride_sbrr_C2R_dirReg
                                        ; -- End function
	.section	.AMDGPU.csdata,"",@progbits
; Kernel info:
; codeLenInByte = 19596
; NumSgprs: 36
; NumVgprs: 150
; NumAgprs: 0
; TotalNumVgprs: 150
; ScratchSize: 0
; MemoryBound: 0
; FloatMode: 240
; IeeeMode: 1
; LDSByteSize: 0 bytes/workgroup (compile time only)
; SGPRBlocks: 4
; VGPRBlocks: 18
; NumSGPRsForWavesPerEU: 36
; NumVGPRsForWavesPerEU: 150
; AccumOffset: 152
; Occupancy: 3
; WaveLimiterHint : 1
; COMPUTE_PGM_RSRC2:SCRATCH_EN: 0
; COMPUTE_PGM_RSRC2:USER_SGPR: 2
; COMPUTE_PGM_RSRC2:TRAP_HANDLER: 0
; COMPUTE_PGM_RSRC2:TGID_X_EN: 1
; COMPUTE_PGM_RSRC2:TGID_Y_EN: 0
; COMPUTE_PGM_RSRC2:TGID_Z_EN: 0
; COMPUTE_PGM_RSRC2:TIDIG_COMP_CNT: 0
; COMPUTE_PGM_RSRC3_GFX90A:ACCUM_OFFSET: 37
; COMPUTE_PGM_RSRC3_GFX90A:TG_SPLIT: 0
	.text
	.p2alignl 6, 3212836864
	.fill 256, 4, 3212836864
	.type	__hip_cuid_5f1e416aaa1a9f20,@object ; @__hip_cuid_5f1e416aaa1a9f20
	.section	.bss,"aw",@nobits
	.globl	__hip_cuid_5f1e416aaa1a9f20
__hip_cuid_5f1e416aaa1a9f20:
	.byte	0                               ; 0x0
	.size	__hip_cuid_5f1e416aaa1a9f20, 1

	.ident	"AMD clang version 19.0.0git (https://github.com/RadeonOpenCompute/llvm-project roc-6.4.0 25133 c7fe45cf4b819c5991fe208aaa96edf142730f1d)"
	.section	".note.GNU-stack","",@progbits
	.addrsig
	.addrsig_sym __hip_cuid_5f1e416aaa1a9f20
	.amdgpu_metadata
---
amdhsa.kernels:
  - .agpr_count:     0
    .args:
      - .actual_access:  read_only
        .address_space:  global
        .offset:         0
        .size:           8
        .value_kind:     global_buffer
      - .offset:         8
        .size:           8
        .value_kind:     by_value
      - .actual_access:  read_only
        .address_space:  global
        .offset:         16
        .size:           8
        .value_kind:     global_buffer
      - .actual_access:  read_only
        .address_space:  global
        .offset:         24
        .size:           8
        .value_kind:     global_buffer
      - .actual_access:  read_only
        .address_space:  global
        .offset:         32
        .size:           8
        .value_kind:     global_buffer
      - .offset:         40
        .size:           8
        .value_kind:     by_value
      - .actual_access:  read_only
        .address_space:  global
        .offset:         48
        .size:           8
        .value_kind:     global_buffer
      - .actual_access:  read_only
        .address_space:  global
        .offset:         56
        .size:           8
        .value_kind:     global_buffer
      - .offset:         64
        .size:           4
        .value_kind:     by_value
      - .actual_access:  read_only
        .address_space:  global
        .offset:         72
        .size:           8
        .value_kind:     global_buffer
      - .actual_access:  read_only
        .address_space:  global
        .offset:         80
        .size:           8
        .value_kind:     global_buffer
      - .actual_access:  read_only
        .address_space:  global
        .offset:         88
        .size:           8
        .value_kind:     global_buffer
      - .actual_access:  write_only
        .address_space:  global
        .offset:         96
        .size:           8
        .value_kind:     global_buffer
    .group_segment_fixed_size: 0
    .kernarg_segment_align: 8
    .kernarg_segment_size: 104
    .language:       OpenCL C
    .language_version:
      - 2
      - 0
    .max_flat_workgroup_size: 63
    .name:           fft_rtc_back_len1512_factors_2_2_2_3_3_3_7_wgs_63_tpt_63_halfLds_dp_op_CI_CI_unitstride_sbrr_C2R_dirReg
    .private_segment_fixed_size: 0
    .sgpr_count:     36
    .sgpr_spill_count: 0
    .symbol:         fft_rtc_back_len1512_factors_2_2_2_3_3_3_7_wgs_63_tpt_63_halfLds_dp_op_CI_CI_unitstride_sbrr_C2R_dirReg.kd
    .uniform_work_group_size: 1
    .uses_dynamic_stack: false
    .vgpr_count:     150
    .vgpr_spill_count: 0
    .wavefront_size: 64
amdhsa.target:   amdgcn-amd-amdhsa--gfx950
amdhsa.version:
  - 1
  - 2
...

	.end_amdgpu_metadata
